;; amdgpu-corpus repo=ROCm/rocFFT kind=compiled arch=gfx906 opt=O3
	.text
	.amdgcn_target "amdgcn-amd-amdhsa--gfx906"
	.amdhsa_code_object_version 6
	.protected	fft_rtc_fwd_len510_factors_17_2_3_5_wgs_238_tpt_34_halfLds_dp_ip_CI_unitstride_sbrr_R2C_dirReg ; -- Begin function fft_rtc_fwd_len510_factors_17_2_3_5_wgs_238_tpt_34_halfLds_dp_ip_CI_unitstride_sbrr_R2C_dirReg
	.globl	fft_rtc_fwd_len510_factors_17_2_3_5_wgs_238_tpt_34_halfLds_dp_ip_CI_unitstride_sbrr_R2C_dirReg
	.p2align	8
	.type	fft_rtc_fwd_len510_factors_17_2_3_5_wgs_238_tpt_34_halfLds_dp_ip_CI_unitstride_sbrr_R2C_dirReg,@function
fft_rtc_fwd_len510_factors_17_2_3_5_wgs_238_tpt_34_halfLds_dp_ip_CI_unitstride_sbrr_R2C_dirReg: ; @fft_rtc_fwd_len510_factors_17_2_3_5_wgs_238_tpt_34_halfLds_dp_ip_CI_unitstride_sbrr_R2C_dirReg
; %bb.0:
	s_mov_b64 s[58:59], s[2:3]
	s_mov_b64 s[56:57], s[0:1]
	s_load_dwordx2 s[12:13], s[4:5], 0x50
	s_load_dwordx4 s[8:11], s[4:5], 0x0
	s_load_dwordx2 s[2:3], s[4:5], 0x18
	v_mul_u32_u24_e32 v1, 0x788, v0
	v_lshrrev_b32_e32 v1, 16, v1
	v_mad_u64_u32 v[1:2], s[0:1], s6, 7, v[1:2]
	v_mov_b32_e32 v5, 0
	s_waitcnt lgkmcnt(0)
	v_cmp_lt_u64_e64 s[0:1], s[10:11], 2
	v_mov_b32_e32 v2, v5
	s_add_u32 s56, s56, s7
	v_mov_b32_e32 v3, 0
	v_mov_b32_e32 v10, v2
	s_addc_u32 s57, s57, 0
	s_and_b64 vcc, exec, s[0:1]
	v_mov_b32_e32 v4, 0
	v_mov_b32_e32 v9, v1
	s_cbranch_vccnz .LBB0_8
; %bb.1:
	s_load_dwordx2 s[0:1], s[4:5], 0x10
	s_add_u32 s6, s2, 8
	s_addc_u32 s7, s3, 0
	v_mov_b32_e32 v3, 0
	v_mov_b32_e32 v8, v2
	s_waitcnt lgkmcnt(0)
	s_add_u32 s16, s0, 8
	s_mov_b64 s[14:15], 1
	v_mov_b32_e32 v4, 0
	s_addc_u32 s17, s1, 0
	v_mov_b32_e32 v7, v1
.LBB0_2:                                ; =>This Inner Loop Header: Depth=1
	s_load_dwordx2 s[18:19], s[16:17], 0x0
                                        ; implicit-def: $vgpr9_vgpr10
	s_waitcnt lgkmcnt(0)
	v_or_b32_e32 v6, s19, v8
	v_cmp_ne_u64_e32 vcc, 0, v[5:6]
	s_and_saveexec_b64 s[0:1], vcc
	s_xor_b64 s[20:21], exec, s[0:1]
	s_cbranch_execz .LBB0_4
; %bb.3:                                ;   in Loop: Header=BB0_2 Depth=1
	v_cvt_f32_u32_e32 v2, s18
	v_cvt_f32_u32_e32 v6, s19
	s_sub_u32 s0, 0, s18
	s_subb_u32 s1, 0, s19
	v_mac_f32_e32 v2, 0x4f800000, v6
	v_rcp_f32_e32 v2, v2
	v_mul_f32_e32 v2, 0x5f7ffffc, v2
	v_mul_f32_e32 v6, 0x2f800000, v2
	v_trunc_f32_e32 v6, v6
	v_mac_f32_e32 v2, 0xcf800000, v6
	v_cvt_u32_f32_e32 v6, v6
	v_cvt_u32_f32_e32 v2, v2
	v_mul_lo_u32 v9, s0, v6
	v_mul_hi_u32 v10, s0, v2
	v_mul_lo_u32 v12, s1, v2
	v_mul_lo_u32 v11, s0, v2
	v_add_u32_e32 v9, v10, v9
	v_add_u32_e32 v9, v9, v12
	v_mul_hi_u32 v10, v2, v11
	v_mul_lo_u32 v12, v2, v9
	v_mul_hi_u32 v14, v2, v9
	v_mul_hi_u32 v13, v6, v11
	v_mul_lo_u32 v11, v6, v11
	v_mul_hi_u32 v15, v6, v9
	v_add_co_u32_e32 v10, vcc, v10, v12
	v_addc_co_u32_e32 v12, vcc, 0, v14, vcc
	v_mul_lo_u32 v9, v6, v9
	v_add_co_u32_e32 v10, vcc, v10, v11
	v_addc_co_u32_e32 v10, vcc, v12, v13, vcc
	v_addc_co_u32_e32 v11, vcc, 0, v15, vcc
	v_add_co_u32_e32 v9, vcc, v10, v9
	v_addc_co_u32_e32 v10, vcc, 0, v11, vcc
	v_add_co_u32_e32 v2, vcc, v2, v9
	v_addc_co_u32_e32 v6, vcc, v6, v10, vcc
	v_mul_lo_u32 v9, s0, v6
	v_mul_hi_u32 v10, s0, v2
	v_mul_lo_u32 v11, s1, v2
	v_mul_lo_u32 v12, s0, v2
	v_add_u32_e32 v9, v10, v9
	v_add_u32_e32 v9, v9, v11
	v_mul_lo_u32 v13, v2, v9
	v_mul_hi_u32 v14, v2, v12
	v_mul_hi_u32 v15, v2, v9
	;; [unrolled: 1-line block ×3, first 2 shown]
	v_mul_lo_u32 v12, v6, v12
	v_mul_hi_u32 v10, v6, v9
	v_add_co_u32_e32 v13, vcc, v14, v13
	v_addc_co_u32_e32 v14, vcc, 0, v15, vcc
	v_mul_lo_u32 v9, v6, v9
	v_add_co_u32_e32 v12, vcc, v13, v12
	v_addc_co_u32_e32 v11, vcc, v14, v11, vcc
	v_addc_co_u32_e32 v10, vcc, 0, v10, vcc
	v_add_co_u32_e32 v9, vcc, v11, v9
	v_addc_co_u32_e32 v10, vcc, 0, v10, vcc
	v_add_co_u32_e32 v2, vcc, v2, v9
	v_addc_co_u32_e32 v6, vcc, v6, v10, vcc
	v_mad_u64_u32 v[9:10], s[0:1], v7, v6, 0
	v_mul_hi_u32 v11, v7, v2
	v_add_co_u32_e32 v13, vcc, v11, v9
	v_addc_co_u32_e32 v14, vcc, 0, v10, vcc
	v_mad_u64_u32 v[9:10], s[0:1], v8, v2, 0
	v_mad_u64_u32 v[11:12], s[0:1], v8, v6, 0
	v_add_co_u32_e32 v2, vcc, v13, v9
	v_addc_co_u32_e32 v2, vcc, v14, v10, vcc
	v_addc_co_u32_e32 v6, vcc, 0, v12, vcc
	v_add_co_u32_e32 v2, vcc, v2, v11
	v_addc_co_u32_e32 v6, vcc, 0, v6, vcc
	v_mul_lo_u32 v11, s19, v2
	v_mul_lo_u32 v12, s18, v6
	v_mad_u64_u32 v[9:10], s[0:1], s18, v2, 0
	v_add3_u32 v10, v10, v12, v11
	v_sub_u32_e32 v11, v8, v10
	v_mov_b32_e32 v12, s19
	v_sub_co_u32_e32 v9, vcc, v7, v9
	v_subb_co_u32_e64 v11, s[0:1], v11, v12, vcc
	v_subrev_co_u32_e64 v12, s[0:1], s18, v9
	v_subbrev_co_u32_e64 v11, s[0:1], 0, v11, s[0:1]
	v_cmp_le_u32_e64 s[0:1], s19, v11
	v_cndmask_b32_e64 v13, 0, -1, s[0:1]
	v_cmp_le_u32_e64 s[0:1], s18, v12
	v_cndmask_b32_e64 v12, 0, -1, s[0:1]
	v_cmp_eq_u32_e64 s[0:1], s19, v11
	v_cndmask_b32_e64 v11, v13, v12, s[0:1]
	v_add_co_u32_e64 v12, s[0:1], 2, v2
	v_addc_co_u32_e64 v13, s[0:1], 0, v6, s[0:1]
	v_add_co_u32_e64 v14, s[0:1], 1, v2
	v_addc_co_u32_e64 v15, s[0:1], 0, v6, s[0:1]
	v_subb_co_u32_e32 v10, vcc, v8, v10, vcc
	v_cmp_ne_u32_e64 s[0:1], 0, v11
	v_cmp_le_u32_e32 vcc, s19, v10
	v_cndmask_b32_e64 v11, v15, v13, s[0:1]
	v_cndmask_b32_e64 v13, 0, -1, vcc
	v_cmp_le_u32_e32 vcc, s18, v9
	v_cndmask_b32_e64 v9, 0, -1, vcc
	v_cmp_eq_u32_e32 vcc, s19, v10
	v_cndmask_b32_e32 v9, v13, v9, vcc
	v_cmp_ne_u32_e32 vcc, 0, v9
	v_cndmask_b32_e32 v10, v6, v11, vcc
	v_cndmask_b32_e64 v6, v14, v12, s[0:1]
	v_cndmask_b32_e32 v9, v2, v6, vcc
.LBB0_4:                                ;   in Loop: Header=BB0_2 Depth=1
	s_andn2_saveexec_b64 s[0:1], s[20:21]
	s_cbranch_execz .LBB0_6
; %bb.5:                                ;   in Loop: Header=BB0_2 Depth=1
	v_cvt_f32_u32_e32 v2, s18
	s_sub_i32 s20, 0, s18
	v_rcp_iflag_f32_e32 v2, v2
	v_mul_f32_e32 v2, 0x4f7ffffe, v2
	v_cvt_u32_f32_e32 v2, v2
	v_mul_lo_u32 v6, s20, v2
	v_mul_hi_u32 v6, v2, v6
	v_add_u32_e32 v2, v2, v6
	v_mul_hi_u32 v2, v7, v2
	v_mul_lo_u32 v6, v2, s18
	v_add_u32_e32 v9, 1, v2
	v_sub_u32_e32 v6, v7, v6
	v_subrev_u32_e32 v10, s18, v6
	v_cmp_le_u32_e32 vcc, s18, v6
	v_cndmask_b32_e32 v6, v6, v10, vcc
	v_cndmask_b32_e32 v2, v2, v9, vcc
	v_add_u32_e32 v9, 1, v2
	v_cmp_le_u32_e32 vcc, s18, v6
	v_cndmask_b32_e32 v9, v2, v9, vcc
	v_mov_b32_e32 v10, v5
.LBB0_6:                                ;   in Loop: Header=BB0_2 Depth=1
	s_or_b64 exec, exec, s[0:1]
	v_mul_lo_u32 v2, v10, s18
	v_mul_lo_u32 v6, v9, s19
	v_mad_u64_u32 v[11:12], s[0:1], v9, s18, 0
	s_load_dwordx2 s[0:1], s[6:7], 0x0
	s_add_u32 s14, s14, 1
	v_add3_u32 v2, v12, v6, v2
	v_sub_co_u32_e32 v6, vcc, v7, v11
	v_subb_co_u32_e32 v2, vcc, v8, v2, vcc
	s_waitcnt lgkmcnt(0)
	v_mul_lo_u32 v2, s0, v2
	v_mul_lo_u32 v7, s1, v6
	v_mad_u64_u32 v[3:4], s[0:1], s0, v6, v[3:4]
	s_addc_u32 s15, s15, 0
	s_add_u32 s6, s6, 8
	v_add3_u32 v4, v7, v4, v2
	v_mov_b32_e32 v6, s10
	v_mov_b32_e32 v7, s11
	s_addc_u32 s7, s7, 0
	v_cmp_ge_u64_e32 vcc, s[14:15], v[6:7]
	s_add_u32 s16, s16, 8
	s_addc_u32 s17, s17, 0
	s_cbranch_vccnz .LBB0_8
; %bb.7:                                ;   in Loop: Header=BB0_2 Depth=1
	v_mov_b32_e32 v7, v9
	v_mov_b32_e32 v8, v10
	s_branch .LBB0_2
.LBB0_8:
	s_lshl_b64 s[0:1], s[10:11], 3
	s_add_u32 s0, s2, s0
	s_addc_u32 s1, s3, s1
	s_load_dwordx2 s[2:3], s[0:1], 0x0
	s_load_dwordx2 s[6:7], s[4:5], 0x20
	s_mov_b32 s0, 0x24924925
	v_mul_hi_u32 v5, v1, s0
	s_waitcnt lgkmcnt(0)
	v_mad_u64_u32 v[2:3], s[0:1], s2, v9, v[3:4]
	v_sub_u32_e32 v4, v1, v5
	v_lshrrev_b32_e32 v4, 1, v4
	v_add_u32_e32 v4, v4, v5
	v_lshrrev_b32_e32 v4, 2, v4
	s_mov_b32 s0, 0x7878788
	v_mul_lo_u32 v6, s2, v10
	v_mul_lo_u32 v7, s3, v9
	;; [unrolled: 1-line block ×3, first 2 shown]
	v_mul_hi_u32 v5, v0, s0
	v_cmp_gt_u64_e32 vcc, s[6:7], v[9:10]
	v_add3_u32 v3, v7, v3, v6
	v_sub_u32_e32 v1, v1, v4
	v_mul_u32_u24_e32 v4, 34, v5
	v_mul_u32_u24_e32 v1, 0x1ff, v1
	v_sub_u32_e32 v112, v0, v4
	v_lshlrev_b64 v[152:153], 4, v[2:3]
	v_lshlrev_b32_e32 v247, 4, v1
	v_lshlrev_b32_e32 v245, 4, v112
	s_and_saveexec_b64 s[2:3], vcc
	s_cbranch_execz .LBB0_10
; %bb.9:
	v_mov_b32_e32 v113, 0
	v_mov_b32_e32 v0, s13
	v_add_co_u32_e64 v2, s[0:1], s12, v152
	v_addc_co_u32_e64 v3, s[0:1], v0, v153, s[0:1]
	v_lshlrev_b64 v[0:1], 4, v[112:113]
	v_add_co_u32_e64 v32, s[0:1], v2, v0
	v_addc_co_u32_e64 v33, s[0:1], v3, v1, s[0:1]
	s_movk_i32 s0, 0x1000
	v_add_co_u32_e64 v60, s[0:1], s0, v32
	v_addc_co_u32_e64 v61, s[0:1], 0, v33, s[0:1]
	global_load_dwordx4 v[0:3], v[32:33], off
	global_load_dwordx4 v[4:7], v[32:33], off offset:544
	global_load_dwordx4 v[8:11], v[32:33], off offset:1088
	;; [unrolled: 1-line block ×7, first 2 shown]
	s_nop 0
	global_load_dwordx4 v[32:35], v[60:61], off offset:256
	global_load_dwordx4 v[36:39], v[60:61], off offset:800
	;; [unrolled: 1-line block ×7, first 2 shown]
	v_add3_u32 v60, 0, v247, v245
	s_waitcnt vmcnt(14)
	ds_write_b128 v60, v[0:3]
	s_waitcnt vmcnt(13)
	ds_write_b128 v60, v[4:7] offset:544
	s_waitcnt vmcnt(12)
	ds_write_b128 v60, v[8:11] offset:1088
	;; [unrolled: 2-line block ×14, first 2 shown]
.LBB0_10:
	s_or_b64 exec, exec, s[2:3]
	v_add_u32_e32 v0, 0, v245
	v_add_u32_e32 v113, v0, v247
	s_waitcnt lgkmcnt(0)
	s_barrier
	ds_read_b128 v[8:11], v113 offset:7680
	ds_read_b128 v[16:19], v113 offset:480
	;; [unrolled: 1-line block ×4, first 2 shown]
	s_mov_b32 s2, 0x2a9d6da3
	s_mov_b32 s3, 0xbfe58eea
	s_waitcnt lgkmcnt(2)
	v_add_f64 v[120:121], v[18:19], -v[10:11]
	v_add_f64 v[118:119], v[16:17], -v[8:9]
	v_add_f64 v[116:117], v[16:17], v[8:9]
	s_waitcnt lgkmcnt(0)
	v_add_f64 v[126:127], v[38:39], -v[14:15]
	v_add_f64 v[148:149], v[18:19], v[10:11]
	v_add_f64 v[124:125], v[36:37], -v[12:13]
	v_add_u32_e32 v246, 0, v247
	v_add_u32_e32 v244, v246, v245
	v_mul_f64 v[90:91], v[120:121], s[2:3]
	v_mul_f64 v[102:103], v[118:119], s[2:3]
	ds_read_b128 v[24:27], v244
	ds_read_b128 v[28:31], v113 offset:1440
	ds_read_b128 v[20:23], v113 offset:6720
	s_mov_b32 s10, 0x75d4884
	s_mov_b32 s4, 0xeb564b22
	;; [unrolled: 1-line block ×4, first 2 shown]
	v_fma_f64 v[0:1], v[116:117], s[10:11], v[90:91]
	v_add_f64 v[122:123], v[36:37], v[12:13]
	v_mul_f64 v[88:89], v[126:127], s[4:5]
	v_fma_f64 v[2:3], v[148:149], s[10:11], -v[102:103]
	v_add_f64 v[150:151], v[38:39], v[14:15]
	v_mul_f64 v[98:99], v[124:125], s[4:5]
	s_waitcnt lgkmcnt(0)
	v_add_f64 v[132:133], v[30:31], -v[22:23]
	v_add_f64 v[130:131], v[28:29], -v[20:21]
	ds_read_b128 v[32:35], v113 offset:6240
	ds_read_b128 v[44:47], v113 offset:1920
	s_mov_b32 s6, 0x3259b75e
	s_mov_b32 s14, 0x6c9a05f6
	;; [unrolled: 1-line block ×4, first 2 shown]
	v_add_f64 v[0:1], v[24:25], v[0:1]
	v_fma_f64 v[4:5], v[122:123], s[6:7], v[88:89]
	v_add_f64 v[2:3], v[26:27], v[2:3]
	v_fma_f64 v[6:7], v[150:151], s[6:7], -v[98:99]
	v_add_f64 v[128:129], v[28:29], v[20:21]
	v_mul_f64 v[94:95], v[132:133], s[14:15]
	v_add_f64 v[134:135], v[30:31], v[22:23]
	v_mul_f64 v[100:101], v[130:131], s[14:15]
	s_waitcnt lgkmcnt(0)
	v_add_f64 v[144:145], v[46:47], -v[34:35]
	v_add_f64 v[138:139], v[44:45], -v[32:33]
	ds_read_b128 v[48:51], v113 offset:2400
	ds_read_b128 v[40:43], v113 offset:5760
	s_mov_b32 s16, 0x6ed5f1bb
	s_mov_b32 s18, 0xacd6c6b4
	;; [unrolled: 1-line block ×6, first 2 shown]
	v_add_f64 v[0:1], v[4:5], v[0:1]
	v_add_f64 v[2:3], v[6:7], v[2:3]
	v_fma_f64 v[4:5], v[128:129], s[16:17], v[94:95]
	v_fma_f64 v[6:7], v[134:135], s[16:17], -v[100:101]
	v_add_f64 v[136:137], v[44:45], v[32:33]
	v_mul_f64 v[92:93], v[144:145], s[20:21]
	v_add_f64 v[154:155], v[46:47], v[34:35]
	v_mul_f64 v[106:107], v[138:139], s[20:21]
	s_waitcnt lgkmcnt(0)
	v_add_f64 v[146:147], v[50:51], -v[42:43]
	v_add_f64 v[142:143], v[48:49], -v[40:41]
	ds_read_b128 v[52:55], v113 offset:5280
	ds_read_b128 v[56:59], v113 offset:2880
	s_mov_b32 s22, 0x7faef3
	s_mov_b32 s24, 0x4363dd80
	;; [unrolled: 1-line block ×4, first 2 shown]
	v_add_f64 v[0:1], v[4:5], v[0:1]
	v_add_f64 v[2:3], v[6:7], v[2:3]
	v_fma_f64 v[4:5], v[136:137], s[22:23], v[92:93]
	v_fma_f64 v[6:7], v[154:155], s[22:23], -v[106:107]
	v_add_f64 v[140:141], v[48:49], v[40:41]
	v_mul_f64 v[96:97], v[146:147], s[24:25]
	v_add_f64 v[168:169], v[50:51], v[42:43]
	v_mul_f64 v[194:195], v[142:143], s[24:25]
	s_waitcnt lgkmcnt(0)
	v_add_f64 v[170:171], v[58:59], -v[54:55]
	v_add_f64 v[162:163], v[56:57], -v[52:53]
	s_mov_b32 s26, 0x910ea3b9
	s_mov_b32 s36, 0x923c349f
	;; [unrolled: 1-line block ×4, first 2 shown]
	v_add_f64 v[0:1], v[4:5], v[0:1]
	v_add_f64 v[2:3], v[6:7], v[2:3]
	v_fma_f64 v[4:5], v[140:141], s[26:27], v[96:97]
	v_fma_f64 v[6:7], v[168:169], s[26:27], -v[194:195]
	v_add_f64 v[160:161], v[56:57], v[52:53]
	v_mul_f64 v[104:105], v[170:171], s[36:37]
	v_add_f64 v[182:183], v[58:59], v[54:55]
	v_mul_f64 v[206:207], v[162:163], s[36:37]
	s_mov_b32 s28, 0xc61f0d01
	s_mov_b32 s34, 0x7c9e640b
	;; [unrolled: 1-line block ×4, first 2 shown]
	v_add_f64 v[0:1], v[4:5], v[0:1]
	v_add_f64 v[2:3], v[6:7], v[2:3]
	v_fma_f64 v[4:5], v[160:161], s[28:29], v[104:105]
	v_fma_f64 v[6:7], v[182:183], s[28:29], -v[206:207]
	v_mul_f64 v[214:215], v[120:121], s[34:35]
	v_mul_f64 v[238:239], v[118:119], s[34:35]
	s_mov_b32 s38, 0x2b2883cd
	s_mov_b32 s39, 0x3fdc86fa
	v_mul_f64 v[226:227], v[126:127], s[14:15]
	v_mul_f64 v[240:241], v[124:125], s[14:15]
	v_add_f64 v[0:1], v[4:5], v[0:1]
	v_add_f64 v[2:3], v[6:7], v[2:3]
	v_fma_f64 v[4:5], v[116:117], s[38:39], v[214:215]
	v_fma_f64 v[6:7], v[148:149], s[38:39], -v[238:239]
	v_mul_f64 v[224:225], v[132:133], s[18:19]
	v_mul_f64 v[236:237], v[130:131], s[18:19]
	v_fma_f64 v[68:69], v[122:123], s[16:17], v[226:227]
	v_fma_f64 v[70:71], v[150:151], s[16:17], -v[240:241]
	v_mul_f64 v[216:217], v[144:145], s[36:37]
	v_mul_f64 v[230:231], v[138:139], s[36:37]
	v_add_f64 v[4:5], v[24:25], v[4:5]
	v_add_f64 v[6:7], v[26:27], v[6:7]
	s_mov_b32 s49, 0x3fe58eea
	s_mov_b32 s48, s2
	v_mul_f64 v[220:221], v[146:147], s[48:49]
	v_mul_f64 v[232:233], v[142:143], s[48:49]
	v_fma_f64 v[80:81], v[136:137], s[28:29], v[216:217]
	v_fma_f64 v[82:83], v[154:155], s[28:29], -v[230:231]
	v_add_f64 v[4:5], v[68:69], v[4:5]
	v_add_f64 v[6:7], v[70:71], v[6:7]
	v_fma_f64 v[68:69], v[128:129], s[22:23], v[224:225]
	v_fma_f64 v[70:71], v[134:135], s[22:23], -v[236:237]
	ds_read_b128 v[64:67], v113 offset:3360
	ds_read_b128 v[60:63], v113 offset:4800
	s_mov_b32 s44, 0x5d8e7cdc
	s_mov_b32 s45, 0xbfd71e95
	v_mul_f64 v[222:223], v[170:171], s[44:45]
	v_mul_f64 v[234:235], v[162:163], s[44:45]
	s_waitcnt lgkmcnt(0)
	v_add_f64 v[192:193], v[66:67], -v[62:63]
	v_add_f64 v[4:5], v[68:69], v[4:5]
	v_add_f64 v[6:7], v[70:71], v[6:7]
	v_add_f64 v[178:179], v[64:65], -v[60:61]
	ds_read_b128 v[72:75], v113 offset:3840
	ds_read_b128 v[68:71], v113 offset:4320
	s_mov_b32 s40, 0x370991
	s_mov_b32 s47, 0x3feca52d
	s_mov_b32 s46, s34
	s_mov_b32 s41, 0x3fedd6d0
	v_add_f64 v[4:5], v[80:81], v[4:5]
	v_add_f64 v[6:7], v[82:83], v[6:7]
	v_fma_f64 v[80:81], v[140:141], s[10:11], v[220:221]
	v_fma_f64 v[82:83], v[168:169], s[10:11], -v[232:233]
	v_add_f64 v[180:181], v[64:65], v[60:61]
	v_mul_f64 v[198:199], v[192:193], s[46:47]
	v_add_f64 v[196:197], v[66:67], v[62:63]
	v_mul_f64 v[208:209], v[178:179], s[46:47]
	s_waitcnt lgkmcnt(0)
	v_add_f64 v[200:201], v[74:75], -v[70:71]
	v_add_f64 v[188:189], v[72:73], -v[68:69]
	v_add_f64 v[4:5], v[80:81], v[4:5]
	v_add_f64 v[6:7], v[82:83], v[6:7]
	v_fma_f64 v[80:81], v[160:161], s[40:41], v[222:223]
	v_fma_f64 v[82:83], v[182:183], s[40:41], -v[234:235]
	v_mul_f64 v[218:219], v[192:193], s[4:5]
	v_mul_f64 v[228:229], v[178:179], s[4:5]
	s_mov_b32 s51, 0x3fd71e95
	s_mov_b32 s50, s44
	;; [unrolled: 1-line block ×4, first 2 shown]
	v_fma_f64 v[76:77], v[180:181], s[38:39], v[198:199]
	v_fma_f64 v[78:79], v[196:197], s[38:39], -v[208:209]
	v_add_f64 v[190:191], v[72:73], v[68:69]
	v_mul_f64 v[204:205], v[200:201], s[50:51]
	v_add_f64 v[202:203], v[74:75], v[70:71]
	v_mul_f64 v[210:211], v[188:189], s[50:51]
	v_add_f64 v[4:5], v[80:81], v[4:5]
	v_add_f64 v[6:7], v[82:83], v[6:7]
	v_fma_f64 v[80:81], v[180:181], s[6:7], v[218:219]
	v_fma_f64 v[82:83], v[196:197], s[6:7], -v[228:229]
	v_mul_f64 v[212:213], v[200:201], s[42:43]
	v_mul_f64 v[242:243], v[188:189], s[42:43]
	v_add_f64 v[0:1], v[76:77], v[0:1]
	v_add_f64 v[2:3], v[78:79], v[2:3]
	v_fma_f64 v[76:77], v[190:191], s[40:41], v[204:205]
	v_fma_f64 v[78:79], v[202:203], s[40:41], -v[210:211]
	v_add_f64 v[80:81], v[80:81], v[4:5]
	v_add_f64 v[82:83], v[82:83], v[6:7]
	v_fma_f64 v[84:85], v[190:191], s[26:27], v[212:213]
	v_fma_f64 v[86:87], v[202:203], s[26:27], -v[242:243]
	v_cmp_gt_u32_e64 s[0:1], 30, v112
	v_add_f64 v[4:5], v[76:77], v[0:1]
	v_add_f64 v[6:7], v[78:79], v[2:3]
	s_barrier
	v_add_f64 v[0:1], v[84:85], v[80:81]
	v_add_f64 v[2:3], v[86:87], v[82:83]
	s_and_saveexec_b64 s[30:31], s[0:1]
	s_cbranch_execz .LBB0_12
; %bb.11:
	v_mul_f64 v[76:77], v[148:149], s[22:23]
	v_mul_f64 v[78:79], v[120:121], s[20:21]
	buffer_store_dword v88, off, s[56:59], 0 offset:56 ; 4-byte Folded Spill
	s_nop 0
	buffer_store_dword v89, off, s[56:59], 0 offset:60 ; 4-byte Folded Spill
	buffer_store_dword v90, off, s[56:59], 0 offset:72 ; 4-byte Folded Spill
	s_nop 0
	buffer_store_dword v91, off, s[56:59], 0 offset:76 ; 4-byte Folded Spill
	;; [unrolled: 3-line block ×4, first 2 shown]
	v_mul_f64 v[88:89], v[150:151], s[40:41]
	v_mul_f64 v[92:93], v[126:127], s[50:51]
	v_fma_f64 v[90:91], v[118:119], s[18:19], v[76:77]
	v_fma_f64 v[94:95], v[116:117], s[22:23], v[78:79]
	buffer_store_dword v96, off, s[56:59], 0 offset:24 ; 4-byte Folded Spill
	s_nop 0
	buffer_store_dword v97, off, s[56:59], 0 offset:28 ; 4-byte Folded Spill
	buffer_store_dword v98, off, s[56:59], 0 offset:88 ; 4-byte Folded Spill
	s_nop 0
	buffer_store_dword v99, off, s[56:59], 0 offset:92 ; 4-byte Folded Spill
	;; [unrolled: 3-line block ×5, first 2 shown]
	v_mul_f64 v[98:99], v[134:135], s[26:27]
	v_fma_f64 v[100:101], v[124:125], s[44:45], v[88:89]
	v_add_f64 v[90:91], v[26:27], v[90:91]
	v_mul_f64 v[102:103], v[132:133], s[42:43]
	v_fma_f64 v[104:105], v[122:123], s[40:41], v[92:93]
	v_add_f64 v[94:95], v[24:25], v[94:95]
	buffer_store_dword v106, off, s[56:59], 0 offset:64 ; 4-byte Folded Spill
	s_nop 0
	buffer_store_dword v107, off, s[56:59], 0 offset:68 ; 4-byte Folded Spill
	v_mul_f64 v[96:97], v[154:155], s[10:11]
	v_fma_f64 v[106:107], v[130:131], s[24:25], v[98:99]
	v_fma_f64 v[76:77], v[118:119], s[20:21], v[76:77]
	v_add_f64 v[90:91], v[100:101], v[90:91]
	v_mul_f64 v[100:101], v[144:145], s[48:49]
	v_fma_f64 v[108:109], v[128:129], s[26:27], v[102:103]
	v_add_f64 v[94:95], v[104:105], v[94:95]
	v_mul_f64 v[86:87], v[168:169], s[16:17]
	v_mul_f64 v[110:111], v[146:147], s[14:15]
	v_fma_f64 v[250:251], v[138:139], s[2:3], v[96:97]
	v_fma_f64 v[78:79], v[116:117], s[22:23], -v[78:79]
	v_add_f64 v[90:91], v[106:107], v[90:91]
	v_fma_f64 v[106:107], v[136:137], s[10:11], v[100:101]
	v_fma_f64 v[88:89], v[124:125], s[50:51], v[88:89]
	v_add_f64 v[94:95], v[108:109], v[94:95]
	v_add_f64 v[76:77], v[26:27], v[76:77]
	s_mov_b32 s53, 0x3fe9895b
	s_mov_b32 s52, s14
	v_mul_f64 v[84:85], v[182:183], s[38:39]
	v_mul_f64 v[104:105], v[170:171], s[46:47]
	v_fma_f64 v[252:253], v[142:143], s[52:53], v[86:87]
	v_add_f64 v[90:91], v[250:251], v[90:91]
	v_fma_f64 v[250:251], v[140:141], s[16:17], v[110:111]
	v_add_f64 v[94:95], v[106:107], v[94:95]
	v_fma_f64 v[92:93], v[122:123], s[40:41], -v[92:93]
	v_add_f64 v[78:79], v[24:25], v[78:79]
	v_fma_f64 v[98:99], v[130:131], s[42:43], v[98:99]
	v_add_f64 v[76:77], v[88:89], v[76:77]
	s_mov_b32 s1, 0xbfeec746
	s_mov_b32 s0, s36
	v_mul_f64 v[82:83], v[196:197], s[28:29]
	v_mul_f64 v[108:109], v[192:193], s[0:1]
	v_fma_f64 v[106:107], v[162:163], s[34:35], v[84:85]
	v_add_f64 v[90:91], v[252:253], v[90:91]
	v_fma_f64 v[88:89], v[160:161], s[38:39], v[104:105]
	v_add_f64 v[94:95], v[250:251], v[94:95]
	v_fma_f64 v[102:103], v[128:129], s[26:27], -v[102:103]
	v_add_f64 v[78:79], v[92:93], v[78:79]
	v_fma_f64 v[96:97], v[138:139], s[48:49], v[96:97]
	;; [unrolled: 12-line block ×3, first 2 shown]
	v_add_f64 v[76:77], v[96:97], v[76:77]
	v_fma_f64 v[100:101], v[188:189], s[4:5], v[80:81]
	v_add_f64 v[90:91], v[92:93], v[90:91]
	v_fma_f64 v[92:93], v[190:191], s[6:7], v[248:249]
	v_add_f64 v[88:89], v[98:99], v[88:89]
	v_fma_f64 v[96:97], v[140:141], s[16:17], -v[110:111]
	v_add_f64 v[94:95], v[94:95], v[78:79]
	v_fma_f64 v[84:85], v[162:163], s[46:47], v[84:85]
	v_mul_f64 v[98:99], v[148:149], s[26:27]
	v_add_f64 v[86:87], v[86:87], v[76:77]
	v_add_f64 v[78:79], v[100:101], v[90:91]
	v_fma_f64 v[82:83], v[178:179], s[0:1], v[82:83]
	v_add_f64 v[76:77], v[92:93], v[88:89]
	v_fma_f64 v[88:89], v[160:161], s[38:39], -v[104:105]
	v_add_f64 v[90:91], v[96:97], v[94:95]
	v_mul_f64 v[92:93], v[150:151], s[38:39]
	v_fma_f64 v[94:95], v[118:119], s[24:25], v[98:99]
	v_add_f64 v[84:85], v[84:85], v[86:87]
	v_mul_f64 v[86:87], v[120:121], s[42:43]
	v_fma_f64 v[96:97], v[180:181], s[28:29], -v[108:109]
	v_fma_f64 v[80:81], v[188:189], s[54:55], v[80:81]
	v_fma_f64 v[104:105], v[190:191], s[6:7], -v[248:249]
	v_add_f64 v[88:89], v[88:89], v[90:91]
	v_mul_f64 v[90:91], v[134:135], s[6:7]
	v_fma_f64 v[100:101], v[124:125], s[34:35], v[92:93]
	v_add_f64 v[94:95], v[26:27], v[94:95]
	v_add_f64 v[82:83], v[82:83], v[84:85]
	v_mul_f64 v[84:85], v[126:127], s[46:47]
	v_fma_f64 v[102:103], v[116:117], s[26:27], v[86:87]
	v_mul_f64 v[248:249], v[182:183], s[22:23]
	v_add_f64 v[88:89], v[96:97], v[88:89]
	v_mul_f64 v[96:97], v[154:155], s[16:17]
	v_fma_f64 v[106:107], v[130:131], s[54:55], v[90:91]
	v_add_f64 v[94:95], v[100:101], v[94:95]
	v_mul_f64 v[100:101], v[132:133], s[4:5]
	v_fma_f64 v[108:109], v[122:123], s[38:39], v[84:85]
	v_add_f64 v[102:103], v[24:25], v[102:103]
	v_add_f64 v[82:83], v[80:81], v[82:83]
	;; [unrolled: 1-line block ×3, first 2 shown]
	v_mul_f64 v[88:89], v[168:169], s[40:41]
	v_fma_f64 v[104:105], v[138:139], s[14:15], v[96:97]
	v_add_f64 v[94:95], v[106:107], v[94:95]
	v_mul_f64 v[106:107], v[144:145], s[52:53]
	v_fma_f64 v[110:111], v[128:129], s[6:7], v[100:101]
	v_add_f64 v[102:103], v[108:109], v[102:103]
	v_fma_f64 v[98:99], v[118:119], s[42:43], v[98:99]
	v_fma_f64 v[92:93], v[124:125], s[46:47], v[92:93]
	;; [unrolled: 1-line block ×4, first 2 shown]
	v_add_f64 v[94:95], v[104:105], v[94:95]
	v_fma_f64 v[252:253], v[136:137], s[16:17], v[106:107]
	v_mul_f64 v[104:105], v[196:197], s[10:11]
	v_add_f64 v[102:103], v[110:111], v[102:103]
	v_mul_f64 v[110:111], v[146:147], s[44:45]
	v_add_f64 v[98:99], v[26:27], v[98:99]
	v_fma_f64 v[86:87], v[116:117], s[26:27], -v[86:87]
	v_fma_f64 v[90:91], v[130:131], s[4:5], v[90:91]
	v_add_f64 v[94:95], v[250:251], v[94:95]
	v_fma_f64 v[84:85], v[122:123], s[38:39], -v[84:85]
	v_fma_f64 v[96:97], v[138:139], s[52:53], v[96:97]
	v_add_f64 v[102:103], v[252:253], v[102:103]
	v_fma_f64 v[252:253], v[140:141], s[40:41], v[110:111]
	v_add_f64 v[92:93], v[92:93], v[98:99]
	;; [unrolled: 2-line block ×3, first 2 shown]
	v_add_f64 v[94:95], v[254:255], v[94:95]
	v_fma_f64 v[100:101], v[128:129], s[6:7], -v[100:101]
	v_mul_f64 v[250:251], v[170:171], s[20:21]
	v_fma_f64 v[88:89], v[142:143], s[44:45], v[88:89]
	v_add_f64 v[102:103], v[252:253], v[102:103]
	v_mul_f64 v[252:253], v[148:149], s[16:17]
	v_add_f64 v[90:91], v[90:91], v[92:93]
	v_add_f64 v[84:85], v[84:85], v[86:87]
	;; [unrolled: 1-line block ×3, first 2 shown]
	v_mul_f64 v[98:99], v[150:151], s[28:29]
	v_fma_f64 v[254:255], v[160:161], s[22:23], v[250:251]
	v_mul_f64 v[92:93], v[192:193], s[48:49]
	v_fma_f64 v[110:111], v[140:141], s[40:41], -v[110:111]
	v_fma_f64 v[94:95], v[118:119], s[52:53], v[252:253]
	v_add_f64 v[90:91], v[96:97], v[90:91]
	v_fma_f64 v[96:97], v[136:137], s[16:17], -v[106:107]
	v_add_f64 v[84:85], v[100:101], v[84:85]
	v_mul_f64 v[100:101], v[134:135], s[40:41]
	v_fma_f64 v[106:107], v[124:125], s[0:1], v[98:99]
	v_fma_f64 v[248:249], v[162:163], s[20:21], v[248:249]
	v_mul_f64 v[108:109], v[202:203], s[28:29]
	v_add_f64 v[94:95], v[26:27], v[94:95]
	v_add_f64 v[88:89], v[88:89], v[90:91]
	;; [unrolled: 1-line block ×4, first 2 shown]
	v_fma_f64 v[96:97], v[130:131], s[50:51], v[100:101]
	v_fma_f64 v[254:255], v[180:181], s[10:11], v[92:93]
	v_mul_f64 v[90:91], v[200:201], s[0:1]
	v_fma_f64 v[250:251], v[160:161], s[22:23], -v[250:251]
	v_add_f64 v[94:95], v[106:107], v[94:95]
	v_mul_f64 v[106:107], v[154:155], s[26:27]
	v_fma_f64 v[104:105], v[178:179], s[48:49], v[104:105]
	v_add_f64 v[84:85], v[110:111], v[84:85]
	v_mul_f64 v[110:111], v[168:169], s[6:7]
	v_add_f64 v[88:89], v[248:249], v[88:89]
	v_add_f64 v[102:103], v[254:255], v[102:103]
	v_fma_f64 v[254:255], v[188:189], s[36:37], v[108:109]
	v_add_f64 v[94:95], v[96:97], v[94:95]
	v_fma_f64 v[96:97], v[138:139], s[24:25], v[106:107]
	v_fma_f64 v[248:249], v[190:191], s[28:29], v[90:91]
	v_fma_f64 v[92:93], v[180:181], s[10:11], -v[92:93]
	v_add_f64 v[84:85], v[250:251], v[84:85]
	v_fma_f64 v[250:251], v[142:143], s[4:5], v[110:111]
	v_add_f64 v[88:89], v[104:105], v[88:89]
	v_mul_f64 v[104:105], v[120:121], s[14:15]
	v_add_f64 v[86:87], v[254:255], v[86:87]
	v_add_f64 v[94:95], v[96:97], v[94:95]
	v_mul_f64 v[96:97], v[182:183], s[10:11]
	v_fma_f64 v[108:109], v[188:189], s[0:1], v[108:109]
	v_fma_f64 v[254:255], v[190:191], s[28:29], -v[90:91]
	v_add_f64 v[92:93], v[92:93], v[84:85]
	v_mul_f64 v[114:115], v[196:197], s[22:23]
	v_add_f64 v[84:85], v[248:249], v[102:103]
	v_mul_f64 v[102:103], v[126:127], s[36:37]
	v_add_f64 v[94:95], v[250:251], v[94:95]
	v_fma_f64 v[250:251], v[162:163], s[48:49], v[96:97]
	v_fma_f64 v[248:249], v[116:117], s[16:17], v[104:105]
	v_add_f64 v[90:91], v[108:109], v[88:89]
	v_add_f64 v[88:89], v[254:255], v[92:93]
	v_fma_f64 v[92:93], v[178:179], s[18:19], v[114:115]
	v_mul_f64 v[108:109], v[132:133], s[44:45]
	buffer_store_dword v76, off, s[56:59], 0 offset:8 ; 4-byte Folded Spill
	s_nop 0
	buffer_store_dword v77, off, s[56:59], 0 offset:12 ; 4-byte Folded Spill
	buffer_store_dword v78, off, s[56:59], 0 offset:16 ; 4-byte Folded Spill
	;; [unrolled: 1-line block ×3, first 2 shown]
	buffer_store_dword v152, off, s[56:59], 0 ; 4-byte Folded Spill
	s_nop 0
	buffer_store_dword v153, off, s[56:59], 0 offset:4 ; 4-byte Folded Spill
	v_add_f64 v[94:95], v[250:251], v[94:95]
	v_fma_f64 v[250:251], v[122:123], s[28:29], v[102:103]
	v_add_f64 v[248:249], v[24:25], v[248:249]
	v_mul_f64 v[158:159], v[202:203], s[38:39]
	v_mul_f64 v[164:165], v[200:201], s[46:47]
	v_fma_f64 v[98:99], v[124:125], s[36:37], v[98:99]
	v_fma_f64 v[100:101], v[130:131], s[44:45], v[100:101]
	v_fma_f64 v[102:103], v[122:123], s[28:29], -v[102:103]
	v_add_f64 v[92:93], v[92:93], v[94:95]
	v_fma_f64 v[94:95], v[128:129], s[40:41], v[108:109]
	v_add_f64 v[248:249], v[250:251], v[248:249]
	v_mul_f64 v[250:251], v[144:145], s[42:43]
	v_fma_f64 v[96:97], v[162:163], s[2:3], v[96:97]
	v_mul_f64 v[78:79], v[132:133], s[36:37]
	v_mul_f64 v[166:167], v[144:145], s[50:51]
	;; [unrolled: 1-line block ×5, first 2 shown]
	v_add_f64 v[94:95], v[94:95], v[248:249]
	v_fma_f64 v[248:249], v[136:137], s[26:27], v[250:251]
	v_mul_f64 v[184:185], v[202:203], s[10:11]
	v_mul_f64 v[186:187], v[200:201], s[48:49]
	v_add_f64 v[18:19], v[26:27], v[18:19]
	v_add_f64 v[16:17], v[24:25], v[16:17]
	;; [unrolled: 1-line block ×3, first 2 shown]
	v_mul_f64 v[248:249], v[146:147], s[54:55]
	v_add_f64 v[18:19], v[18:19], v[38:39]
	v_add_f64 v[16:17], v[16:17], v[36:37]
	v_mul_f64 v[38:39], v[154:155], s[6:7]
	v_fma_f64 v[254:255], v[140:141], s[6:7], v[248:249]
	v_add_f64 v[18:19], v[18:19], v[30:31]
	v_add_f64 v[16:17], v[16:17], v[28:29]
	v_mul_f64 v[30:31], v[168:169], s[28:29]
	v_add_f64 v[94:95], v[254:255], v[94:95]
	v_mul_f64 v[254:255], v[170:171], s[2:3]
	v_add_f64 v[18:19], v[18:19], v[46:47]
	v_add_f64 v[16:17], v[16:17], v[44:45]
	v_mul_f64 v[44:45], v[182:183], s[16:17]
	v_fma_f64 v[46:47], v[142:143], s[36:37], v[30:31]
	v_fma_f64 v[30:31], v[142:143], s[0:1], v[30:31]
	;; [unrolled: 1-line block ×3, first 2 shown]
	v_add_f64 v[18:19], v[18:19], v[50:51]
	v_add_f64 v[48:49], v[16:17], v[48:49]
	v_mul_f64 v[50:51], v[196:197], s[26:27]
	v_add_f64 v[94:95], v[152:153], v[94:95]
	v_mul_f64 v[152:153], v[192:193], s[20:21]
	v_add_f64 v[18:19], v[18:19], v[58:59]
	v_add_f64 v[48:49], v[48:49], v[56:57]
	v_mul_f64 v[56:57], v[202:203], s[22:23]
	v_fma_f64 v[58:59], v[178:179], s[24:25], v[50:51]
	v_fma_f64 v[156:157], v[180:181], s[22:23], v[152:153]
	v_fma_f64 v[152:153], v[180:181], s[22:23], -v[152:153]
	v_add_f64 v[18:19], v[18:19], v[66:67]
	v_add_f64 v[48:49], v[48:49], v[64:65]
	v_mul_f64 v[64:65], v[120:121], s[44:45]
	v_mul_f64 v[66:67], v[170:171], s[14:15]
	v_add_f64 v[156:157], v[156:157], v[94:95]
	v_fma_f64 v[94:95], v[188:189], s[34:35], v[158:159]
	v_add_f64 v[18:19], v[18:19], v[74:75]
	v_add_f64 v[48:49], v[48:49], v[72:73]
	v_fma_f64 v[72:73], v[116:117], s[40:41], -v[64:65]
	v_mul_f64 v[74:75], v[132:133], s[34:35]
	v_fma_f64 v[64:65], v[116:117], s[40:41], v[64:65]
	v_add_f64 v[94:95], v[94:95], v[92:93]
	v_fma_f64 v[92:93], v[190:191], s[38:39], v[164:165]
	v_add_f64 v[18:19], v[18:19], v[70:71]
	v_add_f64 v[48:49], v[48:49], v[68:69]
	;; [unrolled: 1-line block ×3, first 2 shown]
	v_fma_f64 v[72:73], v[128:129], s[38:39], -v[74:75]
	v_add_f64 v[92:93], v[92:93], v[156:157]
	v_fma_f64 v[156:157], v[118:119], s[14:15], v[252:253]
	v_add_f64 v[18:19], v[18:19], v[62:63]
	v_add_f64 v[48:49], v[48:49], v[60:61]
	v_fma_f64 v[62:63], v[128:129], s[38:39], v[74:75]
	v_add_f64 v[156:157], v[26:27], v[156:157]
	v_add_f64 v[18:19], v[18:19], v[54:55]
	;; [unrolled: 1-line block ×4, first 2 shown]
	v_fma_f64 v[156:157], v[188:189], s[46:47], v[158:159]
	v_fma_f64 v[158:159], v[190:191], s[38:39], -v[164:165]
	v_mul_f64 v[164:165], v[182:183], s[6:7]
	v_add_f64 v[18:19], v[18:19], v[42:43]
	v_add_f64 v[40:41], v[48:49], v[40:41]
	;; [unrolled: 1-line block ×3, first 2 shown]
	v_fma_f64 v[100:101], v[138:139], s[42:43], v[106:107]
	v_fma_f64 v[106:107], v[178:179], s[20:21], v[114:115]
	v_fma_f64 v[114:115], v[160:161], s[10:11], -v[254:255]
	v_add_f64 v[18:19], v[18:19], v[34:35]
	v_add_f64 v[32:33], v[40:41], v[32:33]
	v_fma_f64 v[40:41], v[178:179], s[42:43], v[50:51]
	v_add_f64 v[98:99], v[100:101], v[98:99]
	v_fma_f64 v[100:101], v[142:143], s[54:55], v[110:111]
	v_mul_f64 v[110:111], v[134:135], s[10:11]
	v_add_f64 v[18:19], v[18:19], v[22:23]
	v_add_f64 v[20:21], v[32:33], v[20:21]
	v_fma_f64 v[32:33], v[188:189], s[20:21], v[56:57]
	v_add_f64 v[98:99], v[100:101], v[98:99]
	v_fma_f64 v[100:101], v[116:117], s[16:17], -v[104:105]
	v_fma_f64 v[104:105], v[128:129], s[40:41], -v[108:109]
	v_add_f64 v[14:15], v[18:19], v[14:15]
	v_add_f64 v[18:19], v[20:21], v[12:13]
	;; [unrolled: 1-line block ×4, first 2 shown]
	v_fma_f64 v[98:99], v[136:137], s[26:27], -v[250:251]
	v_add_f64 v[20:21], v[14:15], v[10:11]
	v_add_f64 v[18:19], v[18:19], v[8:9]
	v_mul_u32_u24_e32 v8, 0x110, v112
	v_add3_u32 v8, 0, v8, v247
	v_add_f64 v[96:97], v[106:107], v[96:97]
	v_add_f64 v[100:101], v[102:103], v[100:101]
	v_mul_f64 v[102:103], v[148:149], s[28:29]
	v_fma_f64 v[106:107], v[140:141], s[6:7], -v[248:249]
	v_add_f64 v[100:101], v[104:105], v[100:101]
	v_mul_f64 v[104:105], v[150:151], s[26:27]
	v_fma_f64 v[108:109], v[118:119], s[36:37], v[102:103]
	v_fma_f64 v[102:103], v[118:119], s[0:1], v[102:103]
	v_add_f64 v[98:99], v[98:99], v[100:101]
	v_fma_f64 v[100:101], v[124:125], s[42:43], v[104:105]
	v_add_f64 v[108:109], v[26:27], v[108:109]
	v_fma_f64 v[104:105], v[124:125], s[24:25], v[104:105]
	v_add_f64 v[102:103], v[26:27], v[102:103]
	v_add_f64 v[98:99], v[106:107], v[98:99]
	v_mul_f64 v[106:107], v[154:155], s[38:39]
	v_add_f64 v[100:101], v[100:101], v[108:109]
	v_fma_f64 v[108:109], v[130:131], s[2:3], v[110:111]
	v_add_f64 v[102:103], v[104:105], v[102:103]
	v_fma_f64 v[104:105], v[130:131], s[48:49], v[110:111]
	v_add_f64 v[98:99], v[114:115], v[98:99]
	v_fma_f64 v[114:115], v[138:139], s[46:47], v[106:107]
	v_add_f64 v[100:101], v[108:109], v[100:101]
	v_mul_f64 v[108:109], v[168:169], s[22:23]
	v_add_f64 v[102:103], v[104:105], v[102:103]
	v_fma_f64 v[104:105], v[138:139], s[34:35], v[106:107]
	v_add_f64 v[152:153], v[152:153], v[98:99]
	v_add_f64 v[98:99], v[156:157], v[96:97]
	v_fma_f64 v[156:157], v[162:163], s[4:5], v[164:165]
	v_add_f64 v[100:101], v[114:115], v[100:101]
	v_fma_f64 v[114:115], v[142:143], s[18:19], v[108:109]
	v_fma_f64 v[108:109], v[142:143], s[20:21], v[108:109]
	v_add_f64 v[102:103], v[104:105], v[102:103]
	v_add_f64 v[96:97], v[158:159], v[152:153]
	v_mul_f64 v[152:153], v[196:197], s[40:41]
	v_mul_f64 v[158:159], v[126:127], s[24:25]
	v_add_f64 v[100:101], v[114:115], v[100:101]
	v_add_f64 v[102:103], v[108:109], v[102:103]
	v_fma_f64 v[114:115], v[178:179], s[50:51], v[152:153]
	v_fma_f64 v[248:249], v[122:123], s[26:27], v[158:159]
	v_fma_f64 v[106:107], v[122:123], s[26:27], -v[158:159]
	v_add_f64 v[100:101], v[156:157], v[100:101]
	v_mul_f64 v[156:157], v[120:121], s[0:1]
	v_fma_f64 v[152:153], v[178:179], s[44:45], v[152:153]
	v_add_f64 v[100:101], v[114:115], v[100:101]
	v_fma_f64 v[114:115], v[116:117], s[28:29], v[156:157]
	v_fma_f64 v[104:105], v[116:117], s[28:29], -v[156:157]
	v_fma_f64 v[156:157], v[162:163], s[54:55], v[164:165]
	v_mul_f64 v[164:165], v[148:149], s[6:7]
	v_add_f64 v[114:115], v[24:25], v[114:115]
	v_add_f64 v[104:105], v[24:25], v[104:105]
	;; [unrolled: 1-line block ×3, first 2 shown]
	v_mul_f64 v[156:157], v[202:203], s[16:17]
	v_add_f64 v[114:115], v[248:249], v[114:115]
	v_mul_f64 v[248:249], v[132:133], s[48:49]
	v_add_f64 v[104:105], v[106:107], v[104:105]
	v_add_f64 v[152:153], v[152:153], v[102:103]
	v_fma_f64 v[250:251], v[128:129], s[10:11], v[248:249]
	v_fma_f64 v[106:107], v[128:129], s[10:11], -v[248:249]
	v_mul_f64 v[248:249], v[182:183], s[26:27]
	v_add_f64 v[114:115], v[250:251], v[114:115]
	v_mul_f64 v[250:251], v[144:145], s[34:35]
	v_add_f64 v[104:105], v[106:107], v[104:105]
	v_mul_f64 v[106:107], v[170:171], s[54:55]
	v_mul_f64 v[144:145], v[144:145], s[4:5]
	v_fma_f64 v[252:253], v[136:137], s[38:39], v[250:251]
	v_fma_f64 v[110:111], v[136:137], s[38:39], -v[250:251]
	v_fma_f64 v[108:109], v[160:161], s[6:7], v[106:107]
	v_fma_f64 v[106:107], v[160:161], s[6:7], -v[106:107]
	v_mul_f64 v[250:251], v[196:197], s[16:17]
	v_fma_f64 v[54:55], v[136:137], s[6:7], v[144:145]
	v_add_f64 v[114:115], v[252:253], v[114:115]
	v_mul_f64 v[252:253], v[146:147], s[20:21]
	v_add_f64 v[104:105], v[110:111], v[104:105]
	v_mul_f64 v[110:111], v[192:193], s[44:45]
	v_fma_f64 v[254:255], v[140:141], s[22:23], v[252:253]
	v_fma_f64 v[158:159], v[140:141], s[22:23], -v[252:253]
	v_mul_f64 v[252:253], v[120:121], s[4:5]
	v_mul_f64 v[120:121], v[146:147], s[0:1]
	v_add_f64 v[114:115], v[254:255], v[114:115]
	v_add_f64 v[104:105], v[158:159], v[104:105]
	v_mul_f64 v[158:159], v[200:201], s[14:15]
	v_mul_f64 v[254:255], v[126:127], s[20:21]
	;; [unrolled: 1-line block ×3, first 2 shown]
	v_fma_f64 v[48:49], v[140:141], s[28:29], v[120:121]
	v_add_f64 v[108:109], v[108:109], v[114:115]
	v_fma_f64 v[114:115], v[180:181], s[40:41], v[110:111]
	v_add_f64 v[104:105], v[106:107], v[104:105]
	v_fma_f64 v[106:107], v[190:191], s[16:17], v[158:159]
	v_fma_f64 v[110:111], v[180:181], s[40:41], -v[110:111]
	v_fma_f64 v[76:77], v[122:123], s[22:23], v[254:255]
	v_fma_f64 v[70:71], v[122:123], s[10:11], v[126:127]
	v_add_f64 v[108:109], v[114:115], v[108:109]
	v_fma_f64 v[114:115], v[188:189], s[52:53], v[156:157]
	v_add_f64 v[104:105], v[110:111], v[104:105]
	v_add_f64 v[102:103], v[114:115], v[100:101]
	v_fma_f64 v[114:115], v[188:189], s[14:15], v[156:157]
	v_fma_f64 v[156:157], v[190:191], s[16:17], -v[158:159]
	v_add_f64 v[100:101], v[106:107], v[108:109]
	v_mul_f64 v[158:159], v[150:151], s[22:23]
	v_fma_f64 v[108:109], v[118:119], s[54:55], v[164:165]
	v_add_f64 v[106:107], v[114:115], v[152:153]
	v_mul_f64 v[114:115], v[134:135], s[28:29]
	v_add_f64 v[104:105], v[156:157], v[104:105]
	v_fma_f64 v[110:111], v[124:125], s[18:19], v[158:159]
	v_add_f64 v[108:109], v[26:27], v[108:109]
	v_mul_f64 v[156:157], v[154:155], s[40:41]
	v_fma_f64 v[158:159], v[124:125], s[20:21], v[158:159]
	v_fma_f64 v[152:153], v[130:131], s[0:1], v[114:115]
	;; [unrolled: 1-line block ×3, first 2 shown]
	v_add_f64 v[108:109], v[110:111], v[108:109]
	v_fma_f64 v[110:111], v[138:139], s[44:45], v[156:157]
	v_add_f64 v[108:109], v[152:153], v[108:109]
	v_mul_f64 v[152:153], v[168:169], s[38:39]
	v_add_f64 v[108:109], v[110:111], v[108:109]
	v_fma_f64 v[110:111], v[142:143], s[46:47], v[152:153]
	v_add_f64 v[108:109], v[110:111], v[108:109]
	v_fma_f64 v[110:111], v[162:163], s[24:25], v[248:249]
	;; [unrolled: 2-line block ×4, first 2 shown]
	v_add_f64 v[110:111], v[24:25], v[110:111]
	v_add_f64 v[76:77], v[76:77], v[110:111]
	v_fma_f64 v[110:111], v[128:129], s[28:29], v[78:79]
	v_fma_f64 v[78:79], v[128:129], s[28:29], -v[78:79]
	v_add_f64 v[76:77], v[110:111], v[76:77]
	v_fma_f64 v[110:111], v[136:137], s[40:41], v[166:167]
	v_add_f64 v[76:77], v[110:111], v[76:77]
	v_fma_f64 v[110:111], v[140:141], s[38:39], v[172:173]
	;; [unrolled: 2-line block ×7, first 2 shown]
	v_mul_f64 v[164:165], v[128:129], s[22:23]
	v_add_f64 v[76:77], v[26:27], v[76:77]
	v_add_f64 v[164:165], v[164:165], -v[224:225]
	v_add_f64 v[76:77], v[158:159], v[76:77]
	v_mul_f64 v[158:159], v[134:135], s[22:23]
	v_add_f64 v[76:77], v[114:115], v[76:77]
	v_fma_f64 v[114:115], v[138:139], s[50:51], v[156:157]
	v_add_f64 v[158:159], v[236:237], v[158:159]
	v_mul_f64 v[156:157], v[122:123], s[16:17]
	v_add_f64 v[76:77], v[114:115], v[76:77]
	v_fma_f64 v[114:115], v[142:143], s[34:35], v[152:153]
	v_fma_f64 v[152:153], v[122:123], s[22:23], -v[254:255]
	v_add_f64 v[156:157], v[156:157], -v[226:227]
	v_mul_f64 v[226:227], v[190:191], s[40:41]
	v_add_f64 v[76:77], v[114:115], v[76:77]
	v_fma_f64 v[114:115], v[162:163], s[42:43], v[248:249]
	v_add_f64 v[76:77], v[114:115], v[76:77]
	v_fma_f64 v[114:115], v[178:179], s[52:53], v[250:251]
	v_add_f64 v[76:77], v[114:115], v[76:77]
	v_fma_f64 v[114:115], v[116:117], s[6:7], -v[252:253]
	v_add_f64 v[114:115], v[24:25], v[114:115]
	v_add_f64 v[114:115], v[152:153], v[114:115]
	v_fma_f64 v[152:153], v[190:191], s[10:11], -v[186:187]
	v_mul_f64 v[186:187], v[128:129], s[16:17]
	v_add_f64 v[78:79], v[78:79], v[114:115]
	v_fma_f64 v[114:115], v[136:137], s[40:41], -v[166:167]
	v_mul_f64 v[166:167], v[154:155], s[28:29]
	v_add_f64 v[78:79], v[114:115], v[78:79]
	v_fma_f64 v[114:115], v[140:141], s[38:39], -v[172:173]
	v_add_f64 v[166:167], v[230:231], v[166:167]
	v_mul_f64 v[172:173], v[148:149], s[10:11]
	v_add_f64 v[78:79], v[114:115], v[78:79]
	v_fma_f64 v[114:115], v[160:161], s[26:27], -v[174:175]
	v_mul_f64 v[174:175], v[116:117], s[10:11]
	v_add_f64 v[78:79], v[114:115], v[78:79]
	v_fma_f64 v[114:115], v[180:181], s[16:17], -v[176:177]
	v_mul_f64 v[176:177], v[122:123], s[6:7]
	v_add_f64 v[78:79], v[114:115], v[78:79]
	v_fma_f64 v[114:115], v[188:189], s[48:49], v[184:185]
	v_mul_f64 v[184:185], v[150:151], s[6:7]
	v_add_f64 v[248:249], v[152:153], v[78:79]
	v_add_f64 v[250:251], v[114:115], v[76:77]
	v_mul_f64 v[114:115], v[148:149], s[38:39]
	v_mul_f64 v[78:79], v[150:151], s[16:17]
	;; [unrolled: 1-line block ×6, first 2 shown]
	v_add_f64 v[114:115], v[238:239], v[114:115]
	v_add_f64 v[78:79], v[240:241], v[78:79]
	v_add_f64 v[152:153], v[152:153], -v[214:215]
	v_add_f64 v[76:77], v[242:243], v[76:77]
	v_mul_f64 v[214:215], v[134:135], s[16:17]
	v_mul_f64 v[134:135], v[134:135], s[38:39]
	v_fma_f64 v[116:117], v[124:125], s[2:3], v[150:151]
	v_add_f64 v[114:115], v[26:27], v[114:115]
	v_add_f64 v[152:153], v[24:25], v[152:153]
	;; [unrolled: 1-line block ×3, first 2 shown]
	v_mul_f64 v[114:115], v[136:137], s[28:29]
	v_add_f64 v[152:153], v[156:157], v[152:153]
	v_mul_f64 v[156:157], v[168:169], s[10:11]
	v_add_f64 v[78:79], v[158:159], v[78:79]
	v_add_f64 v[114:115], v[114:115], -v[216:217]
	v_add_f64 v[152:153], v[164:165], v[152:153]
	v_mul_f64 v[164:165], v[182:183], s[40:41]
	v_add_f64 v[156:157], v[232:233], v[156:157]
	v_mul_f64 v[158:159], v[140:141], s[10:11]
	v_mul_f64 v[216:217], v[136:137], s[22:23]
	v_add_f64 v[78:79], v[166:167], v[78:79]
	v_mul_f64 v[166:167], v[160:161], s[40:41]
	v_add_f64 v[114:115], v[114:115], v[152:153]
	;; [unrolled: 2-line block ×3, first 2 shown]
	v_add_f64 v[158:159], v[158:159], -v[220:221]
	v_mul_f64 v[220:221], v[140:141], s[26:27]
	v_add_f64 v[78:79], v[156:157], v[78:79]
	v_add_f64 v[166:167], v[166:167], -v[222:223]
	buffer_load_dword v222, off, s[56:59], 0 offset:96 ; 4-byte Folded Reload
	buffer_load_dword v223, off, s[56:59], 0 offset:100 ; 4-byte Folded Reload
	;; [unrolled: 1-line block ×4, first 2 shown]
	v_add_f64 v[152:153], v[228:229], v[152:153]
	v_add_f64 v[114:115], v[158:159], v[114:115]
	v_mul_f64 v[158:159], v[154:155], s[22:23]
	v_mul_f64 v[156:157], v[180:181], s[6:7]
	v_add_f64 v[78:79], v[164:165], v[78:79]
	v_mul_f64 v[164:165], v[190:191], s[26:27]
	v_add_f64 v[114:115], v[166:167], v[114:115]
	v_mul_f64 v[166:167], v[160:161], s[28:29]
	v_add_f64 v[156:157], v[156:157], -v[218:219]
	v_add_f64 v[78:79], v[152:153], v[78:79]
	v_mul_f64 v[152:153], v[202:203], s[40:41]
	v_add_f64 v[164:165], v[164:165], -v[212:213]
	v_mul_f64 v[212:213], v[196:197], s[38:39]
	v_mul_f64 v[218:219], v[168:169], s[26:27]
	v_add_f64 v[114:115], v[156:157], v[114:115]
	v_mul_f64 v[156:157], v[180:181], s[38:39]
	v_add_f64 v[194:195], v[194:195], v[218:219]
	v_add_f64 v[170:171], v[164:165], v[114:115]
	s_waitcnt vmcnt(2)
	v_add_f64 v[172:173], v[222:223], v[172:173]
	s_waitcnt vmcnt(0)
	v_add_f64 v[184:185], v[224:225], v[184:185]
	v_mul_f64 v[222:223], v[182:183], s[28:29]
	v_add_f64 v[224:225], v[26:27], v[172:173]
	v_add_f64 v[172:173], v[76:77], v[78:79]
	buffer_load_dword v78, off, s[56:59], 0 offset:72 ; 4-byte Folded Reload
	buffer_load_dword v79, off, s[56:59], 0 offset:76 ; 4-byte Folded Reload
	v_add_f64 v[76:77], v[210:211], v[152:153]
	v_add_f64 v[152:153], v[208:209], v[212:213]
	;; [unrolled: 1-line block ×4, first 2 shown]
	s_waitcnt vmcnt(0)
	v_add_f64 v[78:79], v[174:175], -v[78:79]
	buffer_load_dword v174, off, s[56:59], 0 offset:80 ; 4-byte Folded Reload
	buffer_load_dword v175, off, s[56:59], 0 offset:84 ; 4-byte Folded Reload
	;; [unrolled: 1-line block ×4, first 2 shown]
	v_add_f64 v[78:79], v[24:25], v[78:79]
	v_add_f64 v[24:25], v[24:25], v[64:65]
	v_fma_f64 v[64:65], v[130:131], s[34:35], v[134:135]
	v_add_f64 v[24:25], v[70:71], v[24:25]
	v_add_f64 v[24:25], v[62:63], v[24:25]
	;; [unrolled: 1-line block ×4, first 2 shown]
	s_waitcnt vmcnt(2)
	v_add_f64 v[174:175], v[174:175], v[214:215]
	s_waitcnt vmcnt(0)
	v_add_f64 v[176:177], v[176:177], -v[208:209]
	buffer_load_dword v208, off, s[56:59], 0 offset:64 ; 4-byte Folded Reload
	buffer_load_dword v209, off, s[56:59], 0 offset:68 ; 4-byte Folded Reload
	v_add_f64 v[174:175], v[174:175], v[184:185]
	buffer_load_dword v184, off, s[56:59], 0 offset:48 ; 4-byte Folded Reload
	buffer_load_dword v185, off, s[56:59], 0 offset:52 ; 4-byte Folded Reload
	v_add_f64 v[78:79], v[176:177], v[78:79]
	v_fma_f64 v[176:177], v[124:125], s[48:49], v[150:151]
	s_waitcnt vmcnt(2)
	v_add_f64 v[158:159], v[208:209], v[158:159]
	v_fma_f64 v[208:209], v[118:119], s[50:51], v[148:149]
	v_fma_f64 v[118:119], v[118:119], s[44:45], v[148:149]
	s_waitcnt vmcnt(0)
	v_add_f64 v[184:185], v[186:187], -v[184:185]
	v_add_f64 v[158:159], v[158:159], v[174:175]
	buffer_load_dword v174, off, s[56:59], 0 offset:32 ; 4-byte Folded Reload
	buffer_load_dword v175, off, s[56:59], 0 offset:36 ; 4-byte Folded Reload
	v_add_f64 v[186:187], v[26:27], v[208:209]
	v_add_f64 v[26:27], v[26:27], v[118:119]
	v_fma_f64 v[118:119], v[122:123], s[10:11], -v[126:127]
	v_add_f64 v[36:37], v[184:185], v[78:79]
	v_fma_f64 v[78:79], v[130:131], s[46:47], v[134:135]
	v_add_f64 v[158:159], v[194:195], v[158:159]
	v_add_f64 v[154:155], v[176:177], v[186:187]
	buffer_load_dword v176, off, s[56:59], 0 offset:24 ; 4-byte Folded Reload
	buffer_load_dword v177, off, s[56:59], 0 offset:28 ; 4-byte Folded Reload
	v_add_f64 v[26:27], v[116:117], v[26:27]
	v_add_f64 v[60:61], v[118:119], v[68:69]
	;; [unrolled: 1-line block ×4, first 2 shown]
	buffer_load_dword v158, off, s[56:59], 0 offset:40 ; 4-byte Folded Reload
	buffer_load_dword v159, off, s[56:59], 0 offset:44 ; 4-byte Folded Reload
	v_add_f64 v[26:27], v[64:65], v[26:27]
	v_fma_f64 v[64:65], v[136:137], s[6:7], -v[144:145]
	v_add_f64 v[52:53], v[72:73], v[60:61]
	v_add_f64 v[42:43], v[64:65], v[52:53]
	s_waitcnt vmcnt(4)
	v_add_f64 v[174:175], v[216:217], -v[174:175]
	v_add_f64 v[28:29], v[174:175], v[36:37]
	v_fma_f64 v[36:37], v[138:139], s[54:55], v[38:39]
	v_fma_f64 v[38:39], v[138:139], s[4:5], v[38:39]
	s_waitcnt vmcnt(2)
	v_add_f64 v[176:177], v[220:221], -v[176:177]
	v_add_f64 v[36:37], v[36:37], v[78:79]
	v_add_f64 v[78:79], v[152:153], v[154:155]
	;; [unrolled: 1-line block ×3, first 2 shown]
	v_fma_f64 v[38:39], v[140:141], s[28:29], -v[120:121]
	v_fma_f64 v[154:155], v[162:163], s[52:53], v[44:45]
	v_fma_f64 v[44:45], v[162:163], s[14:15], v[44:45]
	s_waitcnt vmcnt(0)
	v_add_f64 v[158:159], v[166:167], -v[158:159]
	v_add_f64 v[28:29], v[176:177], v[28:29]
	v_add_f64 v[152:153], v[156:157], -v[198:199]
	v_add_f64 v[16:17], v[76:77], v[78:79]
	v_mul_f64 v[78:79], v[192:193], s[42:43]
	v_add_f64 v[26:27], v[30:31], v[26:27]
	v_fma_f64 v[30:31], v[160:161], s[16:17], -v[66:67]
	v_add_f64 v[34:35], v[38:39], v[42:43]
	v_mul_f64 v[76:77], v[200:201], s[20:21]
	v_add_f64 v[28:29], v[158:159], v[28:29]
	v_add_f64 v[36:37], v[46:47], v[36:37]
	v_add_f64 v[46:47], v[226:227], -v[204:205]
	v_fma_f64 v[42:43], v[180:181], s[26:27], -v[78:79]
	v_add_f64 v[26:27], v[44:45], v[26:27]
	v_fma_f64 v[38:39], v[160:161], s[16:17], v[66:67]
	v_add_f64 v[22:23], v[30:31], v[34:35]
	v_fma_f64 v[34:35], v[190:191], s[22:23], -v[76:77]
	v_add_f64 v[28:29], v[152:153], v[28:29]
	buffer_load_dword v152, off, s[56:59], 0 ; 4-byte Folded Reload
	buffer_load_dword v153, off, s[56:59], 0 offset:4 ; 4-byte Folded Reload
	v_add_f64 v[36:37], v[154:155], v[36:37]
	v_fma_f64 v[30:31], v[180:181], s[26:27], v[78:79]
	v_add_f64 v[26:27], v[40:41], v[26:27]
	v_add_f64 v[24:25], v[38:39], v[24:25]
	;; [unrolled: 1-line block ×3, first 2 shown]
	v_fma_f64 v[38:39], v[188:189], s[18:19], v[56:57]
	v_add_f64 v[14:15], v[46:47], v[28:29]
	v_fma_f64 v[40:41], v[190:191], s[22:23], v[76:77]
	v_add_f64 v[36:37], v[58:59], v[36:37]
	v_add_f64 v[12:13], v[32:33], v[26:27]
	;; [unrolled: 1-line block ×4, first 2 shown]
	ds_write_b128 v8, v[18:21]
	ds_write_b128 v8, v[10:13] offset:16
	ds_write_b128 v8, v[14:17] offset:32
	;; [unrolled: 1-line block ×8, first 2 shown]
	buffer_load_dword v9, off, s[56:59], 0 offset:8 ; 4-byte Folded Reload
	buffer_load_dword v10, off, s[56:59], 0 offset:12 ; 4-byte Folded Reload
	;; [unrolled: 1-line block ×4, first 2 shown]
	v_add_f64 v[24:25], v[38:39], v[36:37]
	v_add_f64 v[22:23], v[40:41], v[30:31]
	s_waitcnt vmcnt(0)
	ds_write_b128 v8, v[9:12] offset:144
	ds_write_b128 v8, v[84:87] offset:160
	;; [unrolled: 1-line block ×8, first 2 shown]
.LBB0_12:
	s_or_b64 exec, exec, s[30:31]
	s_waitcnt lgkmcnt(0)
	s_barrier
	ds_read_b128 v[8:11], v244
	ds_read_b128 v[12:15], v113 offset:544
	ds_read_b128 v[36:39], v113 offset:4624
	;; [unrolled: 1-line block ×13, first 2 shown]
	v_cmp_gt_u32_e64 s[0:1], 17, v112
	s_and_saveexec_b64 s[2:3], s[0:1]
	s_cbranch_execz .LBB0_14
; %bb.13:
	ds_read_b128 v[0:3], v113 offset:3808
	ds_read_b128 v[4:7], v113 offset:7888
.LBB0_14:
	s_or_b64 exec, exec, s[2:3]
	v_subrev_u32_e32 v64, 17, v112
	v_cndmask_b32_e64 v64, v64, v112, s[0:1]
	v_mov_b32_e32 v65, 0
	v_lshlrev_b64 v[68:69], 4, v[64:65]
	v_mov_b32_e32 v71, s9
	v_add_co_u32_e64 v70, s[2:3], s8, v68
	v_addc_co_u32_e64 v71, s[2:3], v71, v69, s[2:3]
	v_add_u32_e32 v67, 34, v112
	s_movk_i32 s2, 0xf1
	v_mul_lo_u16_sdwa v68, v67, s2 dst_sel:DWORD dst_unused:UNUSED_PAD src0_sel:BYTE_0 src1_sel:DWORD
	v_lshrrev_b16_e32 v118, 12, v68
	v_add_u32_e32 v66, 0x44, v112
	v_mul_lo_u16_e32 v68, 17, v118
	v_sub_u16_e32 v69, v67, v68
	v_mov_b32_e32 v68, 4
	v_mul_lo_u16_sdwa v73, v66, s2 dst_sel:DWORD dst_unused:UNUSED_PAD src0_sel:BYTE_0 src1_sel:DWORD
	v_lshlrev_b32_sdwa v119, v68, v69 dst_sel:DWORD dst_unused:UNUSED_PAD src0_sel:DWORD src1_sel:BYTE_0
	global_load_dwordx4 v[74:77], v[70:71], off
	global_load_dwordx4 v[78:81], v119, s[8:9]
	v_lshrrev_b16_e32 v120, 12, v73
	v_add_u16_e32 v71, 0x66, v112
	v_mul_lo_u16_e32 v69, 17, v120
	v_mul_lo_u16_sdwa v72, v71, s2 dst_sel:DWORD dst_unused:UNUSED_PAD src0_sel:BYTE_0 src1_sel:DWORD
	v_sub_u16_e32 v69, v66, v69
	v_lshrrev_b16_e32 v122, 12, v72
	v_lshlrev_b32_sdwa v121, v68, v69 dst_sel:DWORD dst_unused:UNUSED_PAD src0_sel:DWORD src1_sel:BYTE_0
	v_mul_lo_u16_e32 v69, 17, v122
	v_sub_u16_e32 v69, v71, v69
	v_lshlrev_b32_sdwa v123, v68, v69 dst_sel:DWORD dst_unused:UNUSED_PAD src0_sel:DWORD src1_sel:BYTE_0
	v_add_u16_e32 v69, 0x88, v112
	v_mul_lo_u16_sdwa v70, v69, s2 dst_sel:DWORD dst_unused:UNUSED_PAD src0_sel:BYTE_0 src1_sel:DWORD
	v_lshrrev_b16_e32 v124, 12, v70
	v_mul_lo_u16_e32 v90, 17, v124
	v_sub_u16_e32 v90, v69, v90
	v_lshlrev_b32_sdwa v125, v68, v90 dst_sel:DWORD dst_unused:UNUSED_PAD src0_sel:DWORD src1_sel:BYTE_0
	v_add_u16_e32 v90, 0xaa, v112
	global_load_dwordx4 v[82:85], v121, s[8:9]
	global_load_dwordx4 v[86:89], v123, s[8:9]
	v_mul_lo_u16_sdwa v91, v90, s2 dst_sel:DWORD dst_unused:UNUSED_PAD src0_sel:BYTE_0 src1_sel:DWORD
	v_lshrrev_b16_e32 v126, 12, v91
	v_add_u16_e32 v98, 0xcc, v112
	v_mul_lo_u16_e32 v91, 17, v126
	v_mul_lo_u16_sdwa v99, v98, s2 dst_sel:DWORD dst_unused:UNUSED_PAD src0_sel:BYTE_0 src1_sel:DWORD
	v_sub_u16_e32 v90, v90, v91
	v_lshrrev_b16_e32 v128, 12, v99
	v_lshlrev_b32_sdwa v127, v68, v90 dst_sel:DWORD dst_unused:UNUSED_PAD src0_sel:DWORD src1_sel:BYTE_0
	global_load_dwordx4 v[90:93], v125, s[8:9]
	global_load_dwordx4 v[94:97], v127, s[8:9]
	v_mul_lo_u16_e32 v99, 17, v128
	v_sub_u16_e32 v98, v98, v99
	v_lshlrev_b32_sdwa v129, v68, v98 dst_sel:DWORD dst_unused:UNUSED_PAD src0_sel:DWORD src1_sel:BYTE_0
	global_load_dwordx4 v[98:101], v129, s[8:9]
	v_cmp_lt_u32_e64 s[2:3], 16, v112
	v_lshlrev_b32_e32 v64, 4, v64
	s_movk_i32 s4, 0x220
	s_waitcnt vmcnt(0) lgkmcnt(0)
	s_barrier
	v_mul_f64 v[102:103], v[62:63], v[76:77]
	v_mul_f64 v[76:77], v[60:61], v[76:77]
	;; [unrolled: 1-line block ×4, first 2 shown]
	v_fma_f64 v[60:61], v[60:61], v[74:75], -v[102:103]
	v_fma_f64 v[62:63], v[62:63], v[74:75], v[76:77]
	v_fma_f64 v[74:75], v[36:37], v[78:79], -v[104:105]
	v_fma_f64 v[76:77], v[38:39], v[78:79], v[80:81]
	v_add_f64 v[36:37], v[8:9], -v[60:61]
	v_add_f64 v[38:39], v[10:11], -v[62:63]
	v_mul_f64 v[106:107], v[42:43], v[84:85]
	v_mul_f64 v[84:85], v[40:41], v[84:85]
	;; [unrolled: 1-line block ×4, first 2 shown]
	v_fma_f64 v[8:9], v[8:9], 2.0, -v[36:37]
	v_fma_f64 v[10:11], v[10:11], 2.0, -v[38:39]
	v_fma_f64 v[78:79], v[40:41], v[82:83], -v[106:107]
	v_mul_f64 v[110:111], v[50:51], v[92:93]
	v_mul_f64 v[92:93], v[48:49], v[92:93]
	;; [unrolled: 1-line block ×4, first 2 shown]
	v_fma_f64 v[80:81], v[42:43], v[82:83], v[84:85]
	v_mul_f64 v[116:117], v[54:55], v[100:101]
	v_mul_f64 v[100:101], v[52:53], v[100:101]
	v_fma_f64 v[82:83], v[44:45], v[86:87], -v[108:109]
	v_fma_f64 v[84:85], v[46:47], v[86:87], v[88:89]
	v_fma_f64 v[86:87], v[48:49], v[90:91], -v[110:111]
	v_fma_f64 v[88:89], v[50:51], v[90:91], v[92:93]
	;; [unrolled: 2-line block ×3, first 2 shown]
	v_add_f64 v[40:41], v[12:13], -v[74:75]
	v_add_f64 v[42:43], v[14:15], -v[76:77]
	v_fma_f64 v[90:91], v[52:53], v[98:99], -v[116:117]
	v_fma_f64 v[92:93], v[54:55], v[98:99], v[100:101]
	v_add_f64 v[44:45], v[20:21], -v[78:79]
	v_add_f64 v[46:47], v[22:23], -v[80:81]
	;; [unrolled: 1-line block ×8, first 2 shown]
	v_fma_f64 v[12:13], v[12:13], 2.0, -v[40:41]
	v_fma_f64 v[14:15], v[14:15], 2.0, -v[42:43]
	v_add_f64 v[60:61], v[32:33], -v[90:91]
	v_add_f64 v[62:63], v[34:35], -v[92:93]
	v_fma_f64 v[20:21], v[20:21], 2.0, -v[44:45]
	v_fma_f64 v[22:23], v[22:23], 2.0, -v[46:47]
	v_mov_b32_e32 v74, 0x220
	v_cndmask_b32_e64 v74, 0, v74, s[2:3]
	v_fma_f64 v[16:17], v[16:17], 2.0, -v[48:49]
	v_fma_f64 v[18:19], v[18:19], 2.0, -v[50:51]
	v_add_u32_e32 v74, 0, v74
	v_add3_u32 v64, v74, v64, v247
	v_fma_f64 v[28:29], v[28:29], 2.0, -v[52:53]
	v_fma_f64 v[30:31], v[30:31], 2.0, -v[54:55]
	ds_write_b128 v64, v[8:11]
	ds_write_b128 v64, v[36:39] offset:272
	v_mad_u32_u24 v8, v118, s4, 0
	v_add3_u32 v8, v8, v119, v247
	v_fma_f64 v[24:25], v[24:25], 2.0, -v[56:57]
	v_fma_f64 v[26:27], v[26:27], 2.0, -v[58:59]
	ds_write_b128 v8, v[12:15]
	ds_write_b128 v8, v[40:43] offset:272
	v_mad_u32_u24 v8, v120, s4, 0
	;; [unrolled: 6-line block ×3, first 2 shown]
	v_add3_u32 v8, v8, v123, v247
	ds_write_b128 v8, v[16:19]
	ds_write_b128 v8, v[48:51] offset:272
	v_mad_u32_u24 v8, v124, s4, 0
	v_add3_u32 v8, v8, v125, v247
	ds_write_b128 v8, v[28:31]
	ds_write_b128 v8, v[52:55] offset:272
	v_mad_u32_u24 v8, v126, s4, 0
	;; [unrolled: 4-line block ×3, first 2 shown]
	v_add3_u32 v8, v8, v129, v247
	ds_write_b128 v8, v[32:35]
	ds_write_b128 v8, v[60:63] offset:272
	s_and_saveexec_b64 s[2:3], s[0:1]
	s_cbranch_execz .LBB0_16
; %bb.15:
	v_add_u32_e32 v8, 0xee, v112
	s_mov_b32 s4, 0xf0f1
	v_mul_u32_u24_sdwa v9, v8, s4 dst_sel:DWORD dst_unused:UNUSED_PAD src0_sel:WORD_0 src1_sel:DWORD
	v_lshrrev_b32_e32 v9, 20, v9
	v_mul_lo_u16_e32 v9, 17, v9
	v_sub_u16_e32 v8, v8, v9
	v_lshlrev_b32_e32 v14, 4, v8
	global_load_dwordx4 v[8:11], v14, s[8:9]
	s_waitcnt vmcnt(0)
	v_mul_f64 v[12:13], v[4:5], v[10:11]
	v_mul_f64 v[10:11], v[6:7], v[10:11]
	v_fma_f64 v[6:7], v[6:7], v[8:9], v[12:13]
	v_fma_f64 v[4:5], v[4:5], v[8:9], -v[10:11]
	v_add3_u32 v8, 0, v14, v247
	v_add_f64 v[6:7], v[2:3], -v[6:7]
	v_add_f64 v[4:5], v[0:1], -v[4:5]
	v_fma_f64 v[2:3], v[2:3], 2.0, -v[6:7]
	v_fma_f64 v[0:1], v[0:1], 2.0, -v[4:5]
	ds_write_b128 v8, v[0:3] offset:7616
	ds_write_b128 v8, v[4:7] offset:7888
.LBB0_16:
	s_or_b64 exec, exec, s[2:3]
	v_lshlrev_b32_e32 v64, 1, v112
	v_lshlrev_b64 v[1:2], 4, v[64:65]
	v_mov_b32_e32 v0, s9
	v_add_co_u32_e64 v9, s[2:3], s8, v1
	v_addc_co_u32_e64 v10, s[2:3], v0, v2, s[2:3]
	s_waitcnt lgkmcnt(0)
	s_barrier
	global_load_dwordx4 v[1:4], v[9:10], off offset:288
	global_load_dwordx4 v[5:8], v[9:10], off offset:272
	v_lshrrev_b16_e32 v9, 13, v73
	v_mul_lo_u16_e32 v9, 34, v9
	v_sub_u16_e32 v111, v66, v9
	v_mov_b32_e32 v25, 5
	v_lshlrev_b32_sdwa v17, v25, v111 dst_sel:DWORD dst_unused:UNUSED_PAD src0_sel:DWORD src1_sel:BYTE_0
	global_load_dwordx4 v[9:12], v17, s[8:9] offset:288
	global_load_dwordx4 v[13:16], v17, s[8:9] offset:272
	v_lshrrev_b16_e32 v17, 13, v72
	v_mul_lo_u16_e32 v17, 34, v17
	v_sub_u16_e32 v124, v71, v17
	v_lshlrev_b32_sdwa v26, v25, v124 dst_sel:DWORD dst_unused:UNUSED_PAD src0_sel:DWORD src1_sel:BYTE_0
	global_load_dwordx4 v[17:20], v26, s[8:9] offset:288
	global_load_dwordx4 v[21:24], v26, s[8:9] offset:272
	v_lshrrev_b16_e32 v26, 13, v70
	v_mul_lo_u16_e32 v26, 34, v26
	v_sub_u16_e32 v125, v69, v26
	v_lshlrev_b32_sdwa v33, v25, v125 dst_sel:DWORD dst_unused:UNUSED_PAD src0_sel:DWORD src1_sel:BYTE_0
	global_load_dwordx4 v[25:28], v33, s[8:9] offset:272
	global_load_dwordx4 v[29:32], v33, s[8:9] offset:288
	ds_read_b128 v[33:36], v244
	ds_read_b128 v[37:40], v113 offset:544
	ds_read_b128 v[41:44], v113 offset:5440
	;; [unrolled: 1-line block ×14, first 2 shown]
	s_mov_b32 s2, 0xe8584caa
	s_mov_b32 s3, 0x3febb67a
	;; [unrolled: 1-line block ×4, first 2 shown]
	s_waitcnt vmcnt(0) lgkmcnt(0)
	s_barrier
	s_mov_b32 s7, 0xbfee6f0e
	s_mov_b32 s11, 0xbfe2cf23
	;; [unrolled: 1-line block ×4, first 2 shown]
	v_mul_f64 v[101:102], v[43:44], v[3:4]
	v_mul_f64 v[97:98], v[79:80], v[7:8]
	v_mul_f64 v[99:100], v[77:78], v[7:8]
	v_mul_f64 v[103:104], v[41:42], v[3:4]
	v_mul_f64 v[105:106], v[51:52], v[7:8]
	v_mul_f64 v[7:8], v[49:50], v[7:8]
	v_mul_f64 v[107:108], v[47:48], v[3:4]
	v_mul_f64 v[3:4], v[45:46], v[3:4]
	v_mul_f64 v[109:110], v[55:56], v[15:16]
	v_mul_f64 v[15:16], v[53:54], v[15:16]
	v_mul_f64 v[114:115], v[71:72], v[11:12]
	v_mul_f64 v[11:12], v[69:70], v[11:12]
	v_mul_f64 v[116:117], v[87:88], v[23:24]
	v_mul_f64 v[23:24], v[85:86], v[23:24]
	v_mul_f64 v[118:119], v[75:76], v[19:20]
	v_mul_f64 v[19:20], v[73:74], v[19:20]
	v_mul_f64 v[120:121], v[91:92], v[27:28]
	v_mul_f64 v[27:28], v[89:90], v[27:28]
	v_fma_f64 v[77:78], v[77:78], v[5:6], -v[97:98]
	v_fma_f64 v[79:80], v[79:80], v[5:6], v[99:100]
	v_fma_f64 v[41:42], v[41:42], v[1:2], -v[101:102]
	v_fma_f64 v[43:44], v[43:44], v[1:2], v[103:104]
	;; [unrolled: 2-line block ×4, first 2 shown]
	v_mul_f64 v[122:123], v[95:96], v[31:32]
	v_mul_f64 v[31:32], v[93:94], v[31:32]
	v_fma_f64 v[47:48], v[53:54], v[13:14], -v[109:110]
	v_fma_f64 v[51:52], v[55:56], v[13:14], v[15:16]
	v_fma_f64 v[53:54], v[69:70], v[9:10], -v[114:115]
	v_fma_f64 v[55:56], v[71:72], v[9:10], v[11:12]
	;; [unrolled: 2-line block ×5, first 2 shown]
	v_add_f64 v[3:4], v[77:78], v[41:42]
	v_add_f64 v[13:14], v[79:80], v[43:44]
	;; [unrolled: 1-line block ×6, first 2 shown]
	v_fma_f64 v[89:90], v[93:94], v[29:30], -v[122:123]
	v_fma_f64 v[91:92], v[95:96], v[29:30], v[31:32]
	v_add_f64 v[1:2], v[33:34], v[77:78]
	v_add_f64 v[11:12], v[79:80], -v[43:44]
	v_add_f64 v[9:10], v[35:36], v[79:80]
	v_add_f64 v[15:16], v[77:78], -v[41:42]
	v_add_f64 v[21:22], v[5:6], -v[45:46]
	;; [unrolled: 1-line block ×3, first 2 shown]
	v_add_f64 v[29:30], v[47:48], v[53:54]
	v_fma_f64 v[31:32], v[3:4], -0.5, v[33:34]
	v_fma_f64 v[33:34], v[13:14], -0.5, v[35:36]
	v_add_f64 v[5:6], v[17:18], v[7:8]
	v_add_f64 v[7:8], v[23:24], v[45:46]
	v_fma_f64 v[23:24], v[25:26], -0.5, v[39:40]
	v_add_f64 v[25:26], v[51:52], v[55:56]
	v_fma_f64 v[19:20], v[19:20], -0.5, v[37:38]
	v_add_f64 v[37:38], v[69:70], v[73:74]
	v_add_f64 v[1:2], v[1:2], v[41:42]
	v_add_f64 v[3:4], v[9:10], v[43:44]
	v_fma_f64 v[9:10], v[11:12], s[2:3], v[31:32]
	v_fma_f64 v[13:14], v[11:12], s[4:5], v[31:32]
	;; [unrolled: 1-line block ×4, first 2 shown]
	v_add_f64 v[31:32], v[57:58], v[47:48]
	v_fma_f64 v[33:34], v[29:30], -0.5, v[57:58]
	v_add_f64 v[35:36], v[51:52], -v[55:56]
	v_fma_f64 v[39:40], v[25:26], -0.5, v[59:60]
	v_add_f64 v[41:42], v[47:48], -v[53:54]
	v_add_f64 v[43:44], v[61:62], v[69:70]
	v_fma_f64 v[45:46], v[37:38], -0.5, v[61:62]
	v_add_f64 v[47:48], v[71:72], -v[75:76]
	v_add_f64 v[49:50], v[71:72], v[75:76]
	v_fma_f64 v[17:18], v[21:22], s[2:3], v[19:20]
	v_fma_f64 v[21:22], v[21:22], s[4:5], v[19:20]
	;; [unrolled: 1-line block ×4, first 2 shown]
	v_add_f64 v[27:28], v[59:60], v[51:52]
	v_add_f64 v[25:26], v[31:32], v[53:54]
	v_fma_f64 v[29:30], v[35:36], s[2:3], v[33:34]
	v_fma_f64 v[33:34], v[35:36], s[4:5], v[33:34]
	;; [unrolled: 1-line block ×4, first 2 shown]
	v_add_f64 v[37:38], v[43:44], v[73:74]
	v_add_f64 v[39:40], v[85:86], v[89:90]
	;; [unrolled: 1-line block ×3, first 2 shown]
	v_fma_f64 v[41:42], v[47:48], s[2:3], v[45:46]
	v_fma_f64 v[45:46], v[47:48], s[4:5], v[45:46]
	v_add_f64 v[47:48], v[63:64], v[71:72]
	v_fma_f64 v[49:50], v[49:50], -0.5, v[63:64]
	v_add_f64 v[51:52], v[69:70], -v[73:74]
	v_add_f64 v[53:54], v[81:82], v[85:86]
	v_add_f64 v[59:60], v[83:84], v[87:88]
	;; [unrolled: 1-line block ×3, first 2 shown]
	v_fma_f64 v[55:56], v[39:40], -0.5, v[81:82]
	v_add_f64 v[57:58], v[87:88], -v[91:92]
	v_fma_f64 v[61:62], v[43:44], -0.5, v[83:84]
	v_add_f64 v[63:64], v[85:86], -v[89:90]
	v_add_f64 v[39:40], v[47:48], v[75:76]
	v_fma_f64 v[43:44], v[51:52], s[4:5], v[49:50]
	v_fma_f64 v[47:48], v[51:52], s[2:3], v[49:50]
	v_add_f64 v[49:50], v[53:54], v[89:90]
	v_add_f64 v[51:52], v[59:60], v[91:92]
	v_fma_f64 v[53:54], v[57:58], s[2:3], v[55:56]
	v_fma_f64 v[57:58], v[57:58], s[4:5], v[55:56]
	;; [unrolled: 1-line block ×4, first 2 shown]
	ds_write_b128 v113, v[1:4]
	ds_write_b128 v113, v[9:12] offset:544
	ds_write_b128 v113, v[13:16] offset:1088
	;; [unrolled: 1-line block ×5, first 2 shown]
	v_lshlrev_b32_sdwa v1, v68, v111 dst_sel:DWORD dst_unused:UNUSED_PAD src0_sel:DWORD src1_sel:BYTE_0
	v_add3_u32 v1, 0, v1, v247
	ds_write_b128 v1, v[25:28] offset:3264
	ds_write_b128 v1, v[29:32] offset:3808
	;; [unrolled: 1-line block ×3, first 2 shown]
	v_lshlrev_b32_sdwa v1, v68, v124 dst_sel:DWORD dst_unused:UNUSED_PAD src0_sel:DWORD src1_sel:BYTE_0
	v_add3_u32 v1, 0, v1, v247
	ds_write_b128 v1, v[37:40] offset:4896
	ds_write_b128 v1, v[41:44] offset:5440
	;; [unrolled: 1-line block ×3, first 2 shown]
	v_lshlrev_b32_sdwa v1, v68, v125 dst_sel:DWORD dst_unused:UNUSED_PAD src0_sel:DWORD src1_sel:BYTE_0
	v_add3_u32 v1, 0, v1, v247
	v_lshlrev_b32_e32 v64, 2, v112
	ds_write_b128 v1, v[49:52] offset:6528
	ds_write_b128 v1, v[53:56] offset:7072
	;; [unrolled: 1-line block ×3, first 2 shown]
	v_lshlrev_b64 v[1:2], 4, v[64:65]
	s_waitcnt lgkmcnt(0)
	v_add_co_u32_e64 v17, s[2:3], s8, v1
	v_addc_co_u32_e64 v18, s[2:3], v0, v2, s[2:3]
	s_barrier
	global_load_dwordx4 v[1:4], v[17:18], off offset:1360
	global_load_dwordx4 v[5:8], v[17:18], off offset:1376
	;; [unrolled: 1-line block ×4, first 2 shown]
	v_lshlrev_b32_e32 v64, 2, v67
	v_lshlrev_b64 v[17:18], 4, v[64:65]
	v_lshlrev_b32_e32 v64, 2, v66
	v_add_co_u32_e64 v33, s[2:3], s8, v17
	v_addc_co_u32_e64 v34, s[2:3], v0, v18, s[2:3]
	global_load_dwordx4 v[17:20], v[33:34], off offset:1360
	global_load_dwordx4 v[21:24], v[33:34], off offset:1376
	;; [unrolled: 1-line block ×4, first 2 shown]
	v_lshlrev_b64 v[33:34], 4, v[64:65]
	s_mov_b32 s4, 0x4755a5e
	v_add_co_u32_e64 v49, s[2:3], s8, v33
	v_addc_co_u32_e64 v50, s[2:3], v0, v34, s[2:3]
	global_load_dwordx4 v[33:36], v[49:50], off offset:1360
	global_load_dwordx4 v[37:40], v[49:50], off offset:1376
	;; [unrolled: 1-line block ×4, first 2 shown]
	ds_read_b128 v[49:52], v244
	ds_read_b128 v[53:56], v113 offset:544
	ds_read_b128 v[57:60], v113 offset:3264
	;; [unrolled: 1-line block ×14, first 2 shown]
	s_mov_b32 s2, 0x134454ff
	s_mov_b32 s3, 0x3fee6f0e
	;; [unrolled: 1-line block ×5, first 2 shown]
	s_waitcnt vmcnt(0) lgkmcnt(0)
	s_barrier
	v_mul_f64 v[109:110], v[75:76], v[3:4]
	v_mul_f64 v[3:4], v[73:74], v[3:4]
	v_mul_f64 v[114:115], v[59:60], v[7:8]
	v_mul_f64 v[7:8], v[57:58], v[7:8]
	v_mul_f64 v[116:117], v[91:92], v[11:12]
	v_mul_f64 v[11:12], v[89:90], v[11:12]
	v_fma_f64 v[73:74], v[73:74], v[1:2], -v[109:110]
	v_mul_f64 v[109:110], v[67:68], v[15:16]
	v_mul_f64 v[15:16], v[65:66], v[15:16]
	v_fma_f64 v[75:76], v[75:76], v[1:2], v[3:4]
	v_fma_f64 v[2:3], v[57:58], v[5:6], -v[114:115]
	v_fma_f64 v[6:7], v[59:60], v[5:6], v[7:8]
	v_fma_f64 v[4:5], v[89:90], v[9:10], -v[116:117]
	v_fma_f64 v[10:11], v[91:92], v[9:10], v[11:12]
	v_mul_f64 v[0:1], v[83:84], v[19:20]
	v_fma_f64 v[8:9], v[65:66], v[13:14], -v[109:110]
	v_fma_f64 v[14:15], v[67:68], v[13:14], v[15:16]
	v_mul_f64 v[12:13], v[81:82], v[19:20]
	v_mul_f64 v[19:20], v[63:64], v[23:24]
	;; [unrolled: 1-line block ×5, first 2 shown]
	v_fma_f64 v[59:60], v[81:82], v[17:18], -v[0:1]
	v_mul_f64 v[0:1], v[71:72], v[31:32]
	v_mul_f64 v[31:32], v[69:70], v[31:32]
	v_fma_f64 v[65:66], v[83:84], v[17:18], v[12:13]
	v_mul_f64 v[12:13], v[87:88], v[35:36]
	v_fma_f64 v[61:62], v[61:62], v[21:22], -v[19:20]
	v_fma_f64 v[63:64], v[63:64], v[21:22], v[23:24]
	v_fma_f64 v[22:23], v[97:98], v[25:26], -v[57:58]
	v_fma_f64 v[26:27], v[99:100], v[25:26], v[27:28]
	;; [unrolled: 2-line block ×3, first 2 shown]
	v_mul_f64 v[0:1], v[85:86], v[35:36]
	v_mul_f64 v[16:17], v[95:96], v[39:40]
	v_add_f64 v[18:19], v[49:50], v[73:74]
	v_add_f64 v[28:29], v[2:3], v[4:5]
	v_fma_f64 v[57:58], v[85:86], v[33:34], -v[12:13]
	v_mul_f64 v[12:13], v[103:104], v[43:44]
	v_mul_f64 v[35:36], v[101:102], v[43:44]
	;; [unrolled: 1-line block ×3, first 2 shown]
	v_fma_f64 v[67:68], v[87:88], v[33:34], v[0:1]
	v_fma_f64 v[69:70], v[93:94], v[37:38], -v[16:17]
	v_add_f64 v[0:1], v[18:19], v[2:3]
	v_fma_f64 v[16:17], v[28:29], -0.5, v[49:50]
	v_add_f64 v[18:19], v[75:76], -v[14:15]
	v_fma_f64 v[81:82], v[101:102], v[41:42], -v[12:13]
	v_fma_f64 v[42:43], v[103:104], v[41:42], v[35:36]
	v_mul_f64 v[12:13], v[107:108], v[47:48]
	v_add_f64 v[34:35], v[73:74], v[8:9]
	v_fma_f64 v[71:72], v[95:96], v[37:38], v[20:21]
	v_mul_f64 v[20:21], v[105:106], v[47:48]
	v_add_f64 v[32:33], v[6:7], -v[10:11]
	v_fma_f64 v[28:29], v[18:19], s[2:3], v[16:17]
	v_add_f64 v[36:37], v[73:74], -v[2:3]
	v_add_f64 v[38:39], v[8:9], -v[4:5]
	v_fma_f64 v[47:48], v[105:106], v[45:46], -v[12:13]
	v_fma_f64 v[12:13], v[34:35], -0.5, v[49:50]
	v_add_f64 v[34:35], v[51:52], v[75:76]
	v_add_f64 v[0:1], v[0:1], v[4:5]
	v_fma_f64 v[83:84], v[107:108], v[45:46], v[20:21]
	v_fma_f64 v[20:21], v[32:33], s[4:5], v[28:29]
	v_fma_f64 v[16:17], v[18:19], s[6:7], v[16:17]
	v_add_f64 v[28:29], v[36:37], v[38:39]
	v_add_f64 v[36:37], v[6:7], v[10:11]
	v_fma_f64 v[38:39], v[32:33], s[6:7], v[12:13]
	v_add_f64 v[40:41], v[2:3], -v[73:74]
	v_add_f64 v[44:45], v[4:5], -v[8:9]
	v_fma_f64 v[12:13], v[32:33], s[2:3], v[12:13]
	v_add_f64 v[34:35], v[34:35], v[6:7]
	v_add_f64 v[0:1], v[0:1], v[8:9]
	v_add_f64 v[49:50], v[73:74], -v[8:9]
	v_fma_f64 v[36:37], v[36:37], -0.5, v[51:52]
	v_fma_f64 v[8:9], v[32:33], s[10:11], v[16:17]
	v_fma_f64 v[16:17], v[18:19], s[4:5], v[38:39]
	v_add_f64 v[32:33], v[40:41], v[44:45]
	v_fma_f64 v[18:19], v[18:19], s[10:11], v[12:13]
	v_add_f64 v[34:35], v[34:35], v[10:11]
	v_add_f64 v[40:41], v[75:76], v[14:15]
	v_add_f64 v[44:45], v[2:3], -v[4:5]
	v_fma_f64 v[38:39], v[49:50], s[6:7], v[36:37]
	v_fma_f64 v[4:5], v[28:29], s[14:15], v[20:21]
	;; [unrolled: 1-line block ×5, first 2 shown]
	v_add_f64 v[2:3], v[34:35], v[14:15]
	v_fma_f64 v[18:19], v[40:41], -0.5, v[51:52]
	v_add_f64 v[28:29], v[75:76], -v[6:7]
	v_add_f64 v[32:33], v[14:15], -v[10:11]
	v_add_f64 v[34:35], v[53:54], v[59:60]
	v_fma_f64 v[20:21], v[44:45], s[10:11], v[38:39]
	v_fma_f64 v[36:37], v[49:50], s[2:3], v[36:37]
	v_add_f64 v[38:39], v[61:62], v[22:23]
	v_add_f64 v[6:7], v[6:7], -v[75:76]
	v_fma_f64 v[40:41], v[44:45], s[2:3], v[18:19]
	v_add_f64 v[10:11], v[10:11], -v[14:15]
	v_fma_f64 v[14:15], v[44:45], s[6:7], v[18:19]
	v_add_f64 v[18:19], v[28:29], v[32:33]
	v_add_f64 v[28:29], v[34:35], v[61:62]
	v_fma_f64 v[32:33], v[44:45], s[4:5], v[36:37]
	v_fma_f64 v[34:35], v[38:39], -0.5, v[53:54]
	v_add_f64 v[36:37], v[65:66], -v[30:31]
	v_fma_f64 v[38:39], v[49:50], s[10:11], v[40:41]
	v_add_f64 v[40:41], v[6:7], v[10:11]
	v_fma_f64 v[44:45], v[49:50], s[4:5], v[14:15]
	v_add_f64 v[49:50], v[59:60], v[24:25]
	v_add_f64 v[28:29], v[28:29], v[22:23]
	v_fma_f64 v[6:7], v[18:19], s[14:15], v[20:21]
	v_fma_f64 v[10:11], v[18:19], s[14:15], v[32:33]
	;; [unrolled: 1-line block ×3, first 2 shown]
	v_add_f64 v[51:52], v[63:64], -v[26:27]
	v_fma_f64 v[14:15], v[40:41], s[14:15], v[38:39]
	v_fma_f64 v[18:19], v[40:41], s[14:15], v[44:45]
	v_fma_f64 v[38:39], v[49:50], -0.5, v[53:54]
	v_add_f64 v[20:21], v[28:29], v[24:25]
	v_add_f64 v[28:29], v[59:60], -v[61:62]
	v_add_f64 v[40:41], v[24:25], -v[22:23]
	v_fma_f64 v[34:35], v[36:37], s[6:7], v[34:35]
	v_add_f64 v[44:45], v[55:56], v[65:66]
	v_fma_f64 v[32:33], v[51:52], s[4:5], v[32:33]
	v_add_f64 v[49:50], v[63:64], v[26:27]
	v_fma_f64 v[53:54], v[51:52], s[6:7], v[38:39]
	v_add_f64 v[73:74], v[61:62], -v[59:60]
	v_add_f64 v[75:76], v[22:23], -v[24:25]
	v_add_f64 v[28:29], v[28:29], v[40:41]
	v_fma_f64 v[34:35], v[51:52], s[10:11], v[34:35]
	v_fma_f64 v[38:39], v[51:52], s[2:3], v[38:39]
	v_add_f64 v[40:41], v[44:45], v[63:64]
	v_fma_f64 v[44:45], v[49:50], -0.5, v[55:56]
	v_add_f64 v[49:50], v[59:60], -v[24:25]
	v_fma_f64 v[51:52], v[36:37], s[4:5], v[53:54]
	v_add_f64 v[53:54], v[73:74], v[75:76]
	v_fma_f64 v[24:25], v[28:29], s[14:15], v[32:33]
	v_fma_f64 v[28:29], v[28:29], s[14:15], v[34:35]
	;; [unrolled: 1-line block ×3, first 2 shown]
	v_add_f64 v[38:39], v[40:41], v[26:27]
	v_add_f64 v[40:41], v[65:66], v[30:31]
	v_fma_f64 v[59:60], v[49:50], s[6:7], v[44:45]
	v_add_f64 v[61:62], v[61:62], -v[22:23]
	v_fma_f64 v[32:33], v[53:54], s[14:15], v[51:52]
	v_add_f64 v[51:52], v[69:70], v[81:82]
	v_add_f64 v[73:74], v[65:66], -v[63:64]
	v_fma_f64 v[36:37], v[53:54], s[14:15], v[34:35]
	v_add_f64 v[75:76], v[30:31], -v[26:27]
	v_fma_f64 v[34:35], v[40:41], -0.5, v[55:56]
	v_add_f64 v[22:23], v[38:39], v[30:31]
	v_fma_f64 v[38:39], v[61:62], s[10:11], v[59:60]
	v_add_f64 v[40:41], v[77:78], v[57:58]
	v_add_f64 v[63:64], v[63:64], -v[65:66]
	v_add_f64 v[26:27], v[26:27], -v[30:31]
	v_fma_f64 v[51:52], v[51:52], -0.5, v[77:78]
	v_add_f64 v[53:54], v[67:68], -v[83:84]
	v_fma_f64 v[59:60], v[61:62], s[2:3], v[34:35]
	v_fma_f64 v[30:31], v[61:62], s[6:7], v[34:35]
	v_add_f64 v[55:56], v[73:74], v[75:76]
	v_fma_f64 v[44:45], v[49:50], s[2:3], v[44:45]
	v_add_f64 v[34:35], v[40:41], v[69:70]
	v_add_f64 v[63:64], v[63:64], v[26:27]
	v_add_f64 v[65:66], v[71:72], -v[42:43]
	v_fma_f64 v[40:41], v[53:54], s[2:3], v[51:52]
	v_fma_f64 v[59:60], v[49:50], s[10:11], v[59:60]
	;; [unrolled: 1-line block ×3, first 2 shown]
	v_add_f64 v[73:74], v[57:58], -v[69:70]
	v_add_f64 v[75:76], v[47:48], -v[81:82]
	v_fma_f64 v[44:45], v[61:62], s[4:5], v[44:45]
	v_add_f64 v[61:62], v[57:58], v[47:48]
	v_add_f64 v[85:86], v[34:35], v[81:82]
	v_fma_f64 v[26:27], v[55:56], s[14:15], v[38:39]
	v_fma_f64 v[34:35], v[63:64], s[14:15], v[59:60]
	;; [unrolled: 1-line block ×3, first 2 shown]
	v_add_f64 v[49:50], v[71:72], v[42:43]
	v_add_f64 v[63:64], v[67:68], v[83:84]
	v_fma_f64 v[87:88], v[65:66], s[4:5], v[40:41]
	v_add_f64 v[73:74], v[73:74], v[75:76]
	v_fma_f64 v[61:62], v[61:62], -0.5, v[77:78]
	v_add_f64 v[40:41], v[85:86], v[47:48]
	v_fma_f64 v[51:52], v[53:54], s[6:7], v[51:52]
	v_add_f64 v[59:60], v[69:70], -v[57:58]
	v_add_f64 v[75:76], v[81:82], -v[47:48]
	v_add_f64 v[77:78], v[79:80], v[67:68]
	v_fma_f64 v[49:50], v[49:50], -0.5, v[79:80]
	v_add_f64 v[46:47], v[57:58], -v[47:48]
	v_add_f64 v[57:58], v[69:70], -v[81:82]
	v_fma_f64 v[63:64], v[63:64], -0.5, v[79:80]
	v_fma_f64 v[30:31], v[55:56], s[14:15], v[44:45]
	v_fma_f64 v[55:56], v[65:66], s[6:7], v[61:62]
	;; [unrolled: 1-line block ×3, first 2 shown]
	v_add_f64 v[59:60], v[59:60], v[75:76]
	v_fma_f64 v[61:62], v[65:66], s[2:3], v[61:62]
	v_add_f64 v[65:66], v[77:78], v[71:72]
	v_fma_f64 v[69:70], v[46:47], s[6:7], v[49:50]
	v_add_f64 v[75:76], v[67:68], -v[71:72]
	v_add_f64 v[77:78], v[83:84], -v[42:43]
	v_fma_f64 v[48:49], v[46:47], s[2:3], v[49:50]
	v_fma_f64 v[79:80], v[57:58], s[2:3], v[63:64]
	v_add_f64 v[67:68], v[71:72], -v[67:68]
	v_add_f64 v[71:72], v[42:43], -v[83:84]
	v_fma_f64 v[63:64], v[57:58], s[6:7], v[63:64]
	v_fma_f64 v[55:56], v[53:54], s[4:5], v[55:56]
	;; [unrolled: 1-line block ×3, first 2 shown]
	v_add_f64 v[42:43], v[65:66], v[42:43]
	v_fma_f64 v[65:66], v[57:58], s[10:11], v[69:70]
	v_add_f64 v[69:70], v[75:76], v[77:78]
	v_fma_f64 v[75:76], v[57:58], s[4:5], v[48:49]
	v_fma_f64 v[77:78], v[46:47], s[10:11], v[79:80]
	v_add_f64 v[67:68], v[67:68], v[71:72]
	v_fma_f64 v[63:64], v[46:47], s[4:5], v[63:64]
	v_fma_f64 v[44:45], v[73:74], s[14:15], v[87:88]
	;; [unrolled: 1-line block ×5, first 2 shown]
	v_add_f64 v[42:43], v[42:43], v[83:84]
	v_fma_f64 v[46:47], v[69:70], s[14:15], v[65:66]
	v_fma_f64 v[50:51], v[69:70], s[14:15], v[75:76]
	;; [unrolled: 1-line block ×4, first 2 shown]
	ds_write_b128 v113, v[0:3]
	ds_write_b128 v113, v[4:7] offset:1632
	ds_write_b128 v113, v[12:15] offset:3264
	;; [unrolled: 1-line block ×14, first 2 shown]
	s_waitcnt lgkmcnt(0)
	s_barrier
	ds_read_b128 v[4:7], v244
	s_add_u32 s6, s8, 0x1ed0
	s_addc_u32 s7, s9, 0
	v_sub_u32_e32 v12, v246, v245
	v_cmp_ne_u32_e64 s[2:3], 0, v112
                                        ; implicit-def: $vgpr2_vgpr3
                                        ; implicit-def: $vgpr8_vgpr9
                                        ; implicit-def: $vgpr10_vgpr11
	s_and_saveexec_b64 s[4:5], s[2:3]
	s_xor_b64 s[4:5], exec, s[4:5]
	s_cbranch_execz .LBB0_18
; %bb.17:
	v_mov_b32_e32 v113, 0
	v_lshlrev_b64 v[0:1], 4, v[112:113]
	v_mov_b32_e32 v2, s7
	v_add_co_u32_e64 v0, s[2:3], s6, v0
	v_addc_co_u32_e64 v1, s[2:3], v2, v1, s[2:3]
	global_load_dwordx4 v[0:3], v[0:1], off
	ds_read_b128 v[8:11], v12 offset:8160
                                        ; implicit-def: $vgpr246
	s_waitcnt lgkmcnt(0)
	v_add_f64 v[13:14], v[4:5], -v[8:9]
	v_add_f64 v[15:16], v[6:7], v[10:11]
	v_add_f64 v[6:7], v[6:7], -v[10:11]
	v_add_f64 v[4:5], v[4:5], v[8:9]
	v_mul_f64 v[10:11], v[13:14], 0.5
	v_mul_f64 v[13:14], v[15:16], 0.5
	;; [unrolled: 1-line block ×3, first 2 shown]
	s_waitcnt vmcnt(0)
	v_mul_f64 v[8:9], v[10:11], v[2:3]
	v_fma_f64 v[15:16], v[13:14], v[2:3], v[6:7]
	v_fma_f64 v[2:3], v[13:14], v[2:3], -v[6:7]
	v_fma_f64 v[17:18], v[4:5], 0.5, v[8:9]
	v_fma_f64 v[4:5], v[4:5], 0.5, -v[8:9]
	v_fma_f64 v[8:9], -v[0:1], v[10:11], v[15:16]
	v_fma_f64 v[2:3], -v[0:1], v[10:11], v[2:3]
	v_mov_b32_e32 v10, v112
	v_mov_b32_e32 v11, v113
	v_fma_f64 v[6:7], v[13:14], v[0:1], v[17:18]
	v_fma_f64 v[0:1], -v[13:14], v[0:1], v[4:5]
                                        ; implicit-def: $vgpr4_vgpr5
	ds_write_b64 v244, v[6:7]
.LBB0_18:
	s_andn2_saveexec_b64 s[2:3], s[4:5]
	s_cbranch_execz .LBB0_20
; %bb.19:
	s_waitcnt lgkmcnt(0)
	v_add_f64 v[2:3], v[4:5], v[6:7]
	ds_read_b64 v[13:14], v246 offset:4088
	v_add_f64 v[0:1], v[4:5], -v[6:7]
	v_mov_b32_e32 v8, 0
	v_mov_b32_e32 v10, 0
	;; [unrolled: 1-line block ×3, first 2 shown]
	s_waitcnt lgkmcnt(0)
	v_xor_b32_e32 v14, 0x80000000, v14
	ds_write_b64 v246, v[13:14] offset:4088
	ds_write_b64 v244, v[2:3]
	v_mov_b32_e32 v2, v8
	v_mov_b32_e32 v11, 0
	;; [unrolled: 1-line block ×3, first 2 shown]
.LBB0_20:
	s_or_b64 exec, exec, s[2:3]
	s_waitcnt lgkmcnt(0)
	v_lshlrev_b64 v[4:5], 4, v[10:11]
	v_mov_b32_e32 v7, s7
	v_add_co_u32_e64 v6, s[2:3], s6, v4
	v_addc_co_u32_e64 v7, s[2:3], v7, v5, s[2:3]
	global_load_dwordx4 v[13:16], v[6:7], off offset:544
	global_load_dwordx4 v[17:20], v[6:7], off offset:1088
	ds_write_b64 v244, v[8:9] offset:8
	ds_write_b128 v12, v[0:3] offset:8160
	ds_read_b128 v[0:3], v244 offset:544
	ds_read_b128 v[8:11], v12 offset:7616
	s_waitcnt lgkmcnt(0)
	v_add_f64 v[21:22], v[0:1], -v[8:9]
	v_add_f64 v[23:24], v[2:3], v[10:11]
	v_add_f64 v[2:3], v[2:3], -v[10:11]
	v_add_f64 v[0:1], v[0:1], v[8:9]
	v_mul_f64 v[21:22], v[21:22], 0.5
	v_mul_f64 v[23:24], v[23:24], 0.5
	v_mul_f64 v[2:3], v[2:3], 0.5
	s_waitcnt vmcnt(1)
	v_mul_f64 v[8:9], v[21:22], v[15:16]
	v_fma_f64 v[10:11], v[23:24], v[15:16], v[2:3]
	v_fma_f64 v[15:16], v[23:24], v[15:16], -v[2:3]
	v_fma_f64 v[25:26], v[0:1], 0.5, v[8:9]
	v_fma_f64 v[27:28], v[0:1], 0.5, -v[8:9]
	global_load_dwordx4 v[0:3], v[6:7], off offset:1632
	v_fma_f64 v[10:11], -v[13:14], v[21:22], v[10:11]
	v_fma_f64 v[15:16], -v[13:14], v[21:22], v[15:16]
	v_fma_f64 v[8:9], v[23:24], v[13:14], v[25:26]
	v_fma_f64 v[13:14], -v[23:24], v[13:14], v[27:28]
	ds_write_b128 v244, v[8:11] offset:544
	ds_write_b128 v12, v[13:16] offset:7616
	ds_read_b128 v[8:11], v244 offset:1088
	ds_read_b128 v[13:16], v12 offset:7072
	s_waitcnt lgkmcnt(0)
	v_add_f64 v[21:22], v[8:9], -v[13:14]
	v_add_f64 v[23:24], v[10:11], v[15:16]
	v_add_f64 v[10:11], v[10:11], -v[15:16]
	v_add_f64 v[8:9], v[8:9], v[13:14]
	v_mul_f64 v[21:22], v[21:22], 0.5
	v_mul_f64 v[23:24], v[23:24], 0.5
	v_mul_f64 v[10:11], v[10:11], 0.5
	s_waitcnt vmcnt(1)
	v_mul_f64 v[13:14], v[21:22], v[19:20]
	v_fma_f64 v[15:16], v[23:24], v[19:20], v[10:11]
	v_fma_f64 v[19:20], v[23:24], v[19:20], -v[10:11]
	v_fma_f64 v[25:26], v[8:9], 0.5, v[13:14]
	v_fma_f64 v[27:28], v[8:9], 0.5, -v[13:14]
	global_load_dwordx4 v[8:11], v[6:7], off offset:2176
	v_fma_f64 v[15:16], -v[17:18], v[21:22], v[15:16]
	v_fma_f64 v[19:20], -v[17:18], v[21:22], v[19:20]
	v_fma_f64 v[13:14], v[23:24], v[17:18], v[25:26]
	v_fma_f64 v[17:18], -v[23:24], v[17:18], v[27:28]
	ds_write_b128 v244, v[13:16] offset:1088
	;; [unrolled: 23-line block ×4, first 2 shown]
	ds_write_b128 v12, v[8:11] offset:5984
	ds_read_b128 v[8:11], v244 offset:2720
	ds_read_b128 v[17:20], v12 offset:5440
	s_waitcnt lgkmcnt(0)
	v_add_f64 v[21:22], v[8:9], -v[17:18]
	v_add_f64 v[23:24], v[10:11], v[19:20]
	v_add_f64 v[10:11], v[10:11], -v[19:20]
	v_add_f64 v[8:9], v[8:9], v[17:18]
	v_mul_f64 v[19:20], v[21:22], 0.5
	v_mul_f64 v[21:22], v[23:24], 0.5
	;; [unrolled: 1-line block ×3, first 2 shown]
	s_waitcnt vmcnt(1)
	v_mul_f64 v[17:18], v[19:20], v[15:16]
	v_fma_f64 v[23:24], v[21:22], v[15:16], v[10:11]
	v_fma_f64 v[15:16], v[21:22], v[15:16], -v[10:11]
	v_fma_f64 v[25:26], v[8:9], 0.5, v[17:18]
	v_fma_f64 v[17:18], v[8:9], 0.5, -v[17:18]
	v_fma_f64 v[10:11], -v[13:14], v[19:20], v[23:24]
	v_fma_f64 v[15:16], -v[13:14], v[19:20], v[15:16]
	v_fma_f64 v[8:9], v[21:22], v[13:14], v[25:26]
	v_fma_f64 v[13:14], -v[21:22], v[13:14], v[17:18]
	ds_write_b128 v244, v[8:11] offset:2720
	ds_write_b128 v12, v[13:16] offset:5440
	ds_read_b128 v[8:11], v244 offset:3264
	ds_read_b128 v[13:16], v12 offset:4896
	s_waitcnt lgkmcnt(0)
	v_add_f64 v[17:18], v[8:9], -v[13:14]
	v_add_f64 v[19:20], v[10:11], v[15:16]
	v_add_f64 v[10:11], v[10:11], -v[15:16]
	v_add_f64 v[8:9], v[8:9], v[13:14]
	v_mul_f64 v[15:16], v[17:18], 0.5
	v_mul_f64 v[17:18], v[19:20], 0.5
	;; [unrolled: 1-line block ×3, first 2 shown]
	s_waitcnt vmcnt(0)
	v_mul_f64 v[13:14], v[15:16], v[2:3]
	v_fma_f64 v[19:20], v[17:18], v[2:3], v[10:11]
	v_fma_f64 v[2:3], v[17:18], v[2:3], -v[10:11]
	v_fma_f64 v[21:22], v[8:9], 0.5, v[13:14]
	v_fma_f64 v[13:14], v[8:9], 0.5, -v[13:14]
	v_fma_f64 v[10:11], -v[0:1], v[15:16], v[19:20]
	v_fma_f64 v[2:3], -v[0:1], v[15:16], v[2:3]
	v_fma_f64 v[8:9], v[17:18], v[0:1], v[21:22]
	v_fma_f64 v[0:1], -v[17:18], v[0:1], v[13:14]
	ds_write_b128 v244, v[8:11] offset:3264
	ds_write_b128 v12, v[0:3] offset:4896
	s_and_saveexec_b64 s[2:3], s[0:1]
	s_cbranch_execz .LBB0_22
; %bb.21:
	global_load_dwordx4 v[0:3], v[6:7], off offset:3808
	ds_read_b128 v[6:9], v244 offset:3808
	ds_read_b128 v[13:16], v12 offset:4352
	s_waitcnt lgkmcnt(0)
	v_add_f64 v[10:11], v[6:7], -v[13:14]
	v_add_f64 v[17:18], v[8:9], v[15:16]
	v_add_f64 v[8:9], v[8:9], -v[15:16]
	v_add_f64 v[6:7], v[6:7], v[13:14]
	v_mul_f64 v[10:11], v[10:11], 0.5
	v_mul_f64 v[15:16], v[17:18], 0.5
	;; [unrolled: 1-line block ×3, first 2 shown]
	s_waitcnt vmcnt(0)
	v_mul_f64 v[13:14], v[10:11], v[2:3]
	v_fma_f64 v[17:18], v[15:16], v[2:3], v[8:9]
	v_fma_f64 v[2:3], v[15:16], v[2:3], -v[8:9]
	v_fma_f64 v[19:20], v[6:7], 0.5, v[13:14]
	v_fma_f64 v[13:14], v[6:7], 0.5, -v[13:14]
	v_fma_f64 v[8:9], -v[0:1], v[10:11], v[17:18]
	v_fma_f64 v[2:3], -v[0:1], v[10:11], v[2:3]
	v_fma_f64 v[6:7], v[15:16], v[0:1], v[19:20]
	v_fma_f64 v[0:1], -v[15:16], v[0:1], v[13:14]
	ds_write_b128 v244, v[6:9] offset:3808
	ds_write_b128 v12, v[0:3] offset:4352
.LBB0_22:
	s_or_b64 exec, exec, s[2:3]
	s_waitcnt lgkmcnt(0)
	s_barrier
	s_and_saveexec_b64 s[0:1], vcc
	s_cbranch_execz .LBB0_25
; %bb.23:
	ds_read_b128 v[6:9], v244
	ds_read_b128 v[10:13], v244 offset:544
	ds_read_b128 v[14:17], v244 offset:1088
	v_mov_b32_e32 v0, s13
	v_add_co_u32_e32 v1, vcc, s12, v152
	v_addc_co_u32_e32 v0, vcc, v0, v153, vcc
	v_add_co_u32_e32 v22, vcc, v1, v4
	v_addc_co_u32_e32 v23, vcc, v0, v5, vcc
	s_waitcnt lgkmcnt(2)
	global_store_dwordx4 v[22:23], v[6:9], off
	s_waitcnt lgkmcnt(1)
	global_store_dwordx4 v[22:23], v[10:13], off offset:544
	s_waitcnt lgkmcnt(0)
	global_store_dwordx4 v[22:23], v[14:17], off offset:1088
	ds_read_b128 v[2:5], v244 offset:1632
	ds_read_b128 v[6:9], v244 offset:2176
	;; [unrolled: 1-line block ×5, first 2 shown]
	s_waitcnt lgkmcnt(4)
	global_store_dwordx4 v[22:23], v[2:5], off offset:1632
	s_waitcnt lgkmcnt(3)
	global_store_dwordx4 v[22:23], v[6:9], off offset:2176
	s_waitcnt lgkmcnt(2)
	global_store_dwordx4 v[22:23], v[10:13], off offset:2720
	s_waitcnt lgkmcnt(1)
	global_store_dwordx4 v[22:23], v[14:17], off offset:3264
	s_waitcnt lgkmcnt(0)
	global_store_dwordx4 v[22:23], v[18:21], off offset:3808
	ds_read_b128 v[2:5], v244 offset:4352
	ds_read_b128 v[6:9], v244 offset:4896
	s_movk_i32 s0, 0x1000
	v_add_co_u32_e32 v22, vcc, s0, v22
	v_addc_co_u32_e32 v23, vcc, 0, v23, vcc
	s_waitcnt lgkmcnt(1)
	global_store_dwordx4 v[22:23], v[2:5], off offset:256
	s_waitcnt lgkmcnt(0)
	global_store_dwordx4 v[22:23], v[6:9], off offset:800
	ds_read_b128 v[2:5], v244 offset:5440
	ds_read_b128 v[6:9], v244 offset:5984
	;; [unrolled: 1-line block ×5, first 2 shown]
	v_cmp_eq_u32_e32 vcc, 33, v112
	s_waitcnt lgkmcnt(4)
	global_store_dwordx4 v[22:23], v[2:5], off offset:1344
	s_waitcnt lgkmcnt(3)
	global_store_dwordx4 v[22:23], v[6:9], off offset:1888
	;; [unrolled: 2-line block ×5, first 2 shown]
	s_and_b64 exec, exec, vcc
	s_cbranch_execz .LBB0_25
; %bb.24:
	ds_read_b128 v[2:5], v244 offset:7632
	v_add_co_u32_e32 v6, vcc, 0x1000, v1
	v_addc_co_u32_e32 v7, vcc, 0, v0, vcc
	s_waitcnt lgkmcnt(0)
	global_store_dwordx4 v[6:7], v[2:5], off offset:4064
.LBB0_25:
	s_endpgm
	.section	.rodata,"a",@progbits
	.p2align	6, 0x0
	.amdhsa_kernel fft_rtc_fwd_len510_factors_17_2_3_5_wgs_238_tpt_34_halfLds_dp_ip_CI_unitstride_sbrr_R2C_dirReg
		.amdhsa_group_segment_fixed_size 0
		.amdhsa_private_segment_fixed_size 108
		.amdhsa_kernarg_size 88
		.amdhsa_user_sgpr_count 6
		.amdhsa_user_sgpr_private_segment_buffer 1
		.amdhsa_user_sgpr_dispatch_ptr 0
		.amdhsa_user_sgpr_queue_ptr 0
		.amdhsa_user_sgpr_kernarg_segment_ptr 1
		.amdhsa_user_sgpr_dispatch_id 0
		.amdhsa_user_sgpr_flat_scratch_init 0
		.amdhsa_user_sgpr_private_segment_size 0
		.amdhsa_uses_dynamic_stack 0
		.amdhsa_system_sgpr_private_segment_wavefront_offset 1
		.amdhsa_system_sgpr_workgroup_id_x 1
		.amdhsa_system_sgpr_workgroup_id_y 0
		.amdhsa_system_sgpr_workgroup_id_z 0
		.amdhsa_system_sgpr_workgroup_info 0
		.amdhsa_system_vgpr_workitem_id 0
		.amdhsa_next_free_vgpr 256
		.amdhsa_next_free_sgpr 60
		.amdhsa_reserve_vcc 1
		.amdhsa_reserve_flat_scratch 0
		.amdhsa_float_round_mode_32 0
		.amdhsa_float_round_mode_16_64 0
		.amdhsa_float_denorm_mode_32 3
		.amdhsa_float_denorm_mode_16_64 3
		.amdhsa_dx10_clamp 1
		.amdhsa_ieee_mode 1
		.amdhsa_fp16_overflow 0
		.amdhsa_exception_fp_ieee_invalid_op 0
		.amdhsa_exception_fp_denorm_src 0
		.amdhsa_exception_fp_ieee_div_zero 0
		.amdhsa_exception_fp_ieee_overflow 0
		.amdhsa_exception_fp_ieee_underflow 0
		.amdhsa_exception_fp_ieee_inexact 0
		.amdhsa_exception_int_div_zero 0
	.end_amdhsa_kernel
	.text
.Lfunc_end0:
	.size	fft_rtc_fwd_len510_factors_17_2_3_5_wgs_238_tpt_34_halfLds_dp_ip_CI_unitstride_sbrr_R2C_dirReg, .Lfunc_end0-fft_rtc_fwd_len510_factors_17_2_3_5_wgs_238_tpt_34_halfLds_dp_ip_CI_unitstride_sbrr_R2C_dirReg
                                        ; -- End function
	.section	.AMDGPU.csdata,"",@progbits
; Kernel info:
; codeLenInByte = 15684
; NumSgprs: 64
; NumVgprs: 256
; ScratchSize: 108
; MemoryBound: 0
; FloatMode: 240
; IeeeMode: 1
; LDSByteSize: 0 bytes/workgroup (compile time only)
; SGPRBlocks: 7
; VGPRBlocks: 63
; NumSGPRsForWavesPerEU: 64
; NumVGPRsForWavesPerEU: 256
; Occupancy: 1
; WaveLimiterHint : 1
; COMPUTE_PGM_RSRC2:SCRATCH_EN: 1
; COMPUTE_PGM_RSRC2:USER_SGPR: 6
; COMPUTE_PGM_RSRC2:TRAP_HANDLER: 0
; COMPUTE_PGM_RSRC2:TGID_X_EN: 1
; COMPUTE_PGM_RSRC2:TGID_Y_EN: 0
; COMPUTE_PGM_RSRC2:TGID_Z_EN: 0
; COMPUTE_PGM_RSRC2:TIDIG_COMP_CNT: 0
	.type	__hip_cuid_a764db8d59b16b0e,@object ; @__hip_cuid_a764db8d59b16b0e
	.section	.bss,"aw",@nobits
	.globl	__hip_cuid_a764db8d59b16b0e
__hip_cuid_a764db8d59b16b0e:
	.byte	0                               ; 0x0
	.size	__hip_cuid_a764db8d59b16b0e, 1

	.ident	"AMD clang version 19.0.0git (https://github.com/RadeonOpenCompute/llvm-project roc-6.4.0 25133 c7fe45cf4b819c5991fe208aaa96edf142730f1d)"
	.section	".note.GNU-stack","",@progbits
	.addrsig
	.addrsig_sym __hip_cuid_a764db8d59b16b0e
	.amdgpu_metadata
---
amdhsa.kernels:
  - .args:
      - .actual_access:  read_only
        .address_space:  global
        .offset:         0
        .size:           8
        .value_kind:     global_buffer
      - .offset:         8
        .size:           8
        .value_kind:     by_value
      - .actual_access:  read_only
        .address_space:  global
        .offset:         16
        .size:           8
        .value_kind:     global_buffer
      - .actual_access:  read_only
        .address_space:  global
        .offset:         24
        .size:           8
        .value_kind:     global_buffer
      - .offset:         32
        .size:           8
        .value_kind:     by_value
      - .actual_access:  read_only
        .address_space:  global
        .offset:         40
        .size:           8
        .value_kind:     global_buffer
      - .actual_access:  read_only
        .address_space:  global
        .offset:         48
        .size:           8
        .value_kind:     global_buffer
      - .offset:         56
        .size:           4
        .value_kind:     by_value
      - .actual_access:  read_only
        .address_space:  global
        .offset:         64
        .size:           8
        .value_kind:     global_buffer
      - .actual_access:  read_only
        .address_space:  global
        .offset:         72
        .size:           8
        .value_kind:     global_buffer
      - .address_space:  global
        .offset:         80
        .size:           8
        .value_kind:     global_buffer
    .group_segment_fixed_size: 0
    .kernarg_segment_align: 8
    .kernarg_segment_size: 88
    .language:       OpenCL C
    .language_version:
      - 2
      - 0
    .max_flat_workgroup_size: 238
    .name:           fft_rtc_fwd_len510_factors_17_2_3_5_wgs_238_tpt_34_halfLds_dp_ip_CI_unitstride_sbrr_R2C_dirReg
    .private_segment_fixed_size: 108
    .sgpr_count:     64
    .sgpr_spill_count: 0
    .symbol:         fft_rtc_fwd_len510_factors_17_2_3_5_wgs_238_tpt_34_halfLds_dp_ip_CI_unitstride_sbrr_R2C_dirReg.kd
    .uniform_work_group_size: 1
    .uses_dynamic_stack: false
    .vgpr_count:     256
    .vgpr_spill_count: 26
    .wavefront_size: 64
amdhsa.target:   amdgcn-amd-amdhsa--gfx906
amdhsa.version:
  - 1
  - 2
...

	.end_amdgpu_metadata
